;; amdgpu-corpus repo=ROCm/rocFFT kind=compiled arch=gfx1030 opt=O3
	.text
	.amdgcn_target "amdgcn-amd-amdhsa--gfx1030"
	.amdhsa_code_object_version 6
	.protected	fft_rtc_fwd_len1428_factors_17_2_7_6_wgs_119_tpt_119_halfLds_sp_op_CI_CI_unitstride_sbrr_dirReg ; -- Begin function fft_rtc_fwd_len1428_factors_17_2_7_6_wgs_119_tpt_119_halfLds_sp_op_CI_CI_unitstride_sbrr_dirReg
	.globl	fft_rtc_fwd_len1428_factors_17_2_7_6_wgs_119_tpt_119_halfLds_sp_op_CI_CI_unitstride_sbrr_dirReg
	.p2align	8
	.type	fft_rtc_fwd_len1428_factors_17_2_7_6_wgs_119_tpt_119_halfLds_sp_op_CI_CI_unitstride_sbrr_dirReg,@function
fft_rtc_fwd_len1428_factors_17_2_7_6_wgs_119_tpt_119_halfLds_sp_op_CI_CI_unitstride_sbrr_dirReg: ; @fft_rtc_fwd_len1428_factors_17_2_7_6_wgs_119_tpt_119_halfLds_sp_op_CI_CI_unitstride_sbrr_dirReg
; %bb.0:
	s_clause 0x2
	s_load_dwordx4 s[12:15], s[4:5], 0x0
	s_load_dwordx4 s[8:11], s[4:5], 0x58
	;; [unrolled: 1-line block ×3, first 2 shown]
	v_mul_u32_u24_e32 v1, 0x227, v0
	v_mov_b32_e32 v3, 0
	v_mov_b32_e32 v7, 0
	;; [unrolled: 1-line block ×3, first 2 shown]
	v_add_nc_u32_sdwa v9, s6, v1 dst_sel:DWORD dst_unused:UNUSED_PAD src0_sel:DWORD src1_sel:WORD_1
	v_mov_b32_e32 v10, v3
	s_waitcnt lgkmcnt(0)
	v_cmp_lt_u64_e64 s0, s[14:15], 2
	s_and_b32 vcc_lo, exec_lo, s0
	s_cbranch_vccnz .LBB0_8
; %bb.1:
	s_load_dwordx2 s[0:1], s[4:5], 0x10
	v_mov_b32_e32 v7, 0
	v_mov_b32_e32 v8, 0
	s_add_u32 s2, s18, 8
	s_addc_u32 s3, s19, 0
	v_mov_b32_e32 v1, v7
	s_add_u32 s6, s16, 8
	v_mov_b32_e32 v2, v8
	s_addc_u32 s7, s17, 0
	s_mov_b64 s[22:23], 1
	s_waitcnt lgkmcnt(0)
	s_add_u32 s20, s0, 8
	s_addc_u32 s21, s1, 0
.LBB0_2:                                ; =>This Inner Loop Header: Depth=1
	s_load_dwordx2 s[24:25], s[20:21], 0x0
                                        ; implicit-def: $vgpr5_vgpr6
	s_mov_b32 s0, exec_lo
	s_waitcnt lgkmcnt(0)
	v_or_b32_e32 v4, s25, v10
	v_cmpx_ne_u64_e32 0, v[3:4]
	s_xor_b32 s1, exec_lo, s0
	s_cbranch_execz .LBB0_4
; %bb.3:                                ;   in Loop: Header=BB0_2 Depth=1
	v_cvt_f32_u32_e32 v4, s24
	v_cvt_f32_u32_e32 v5, s25
	s_sub_u32 s0, 0, s24
	s_subb_u32 s26, 0, s25
	v_fmac_f32_e32 v4, 0x4f800000, v5
	v_rcp_f32_e32 v4, v4
	v_mul_f32_e32 v4, 0x5f7ffffc, v4
	v_mul_f32_e32 v5, 0x2f800000, v4
	v_trunc_f32_e32 v5, v5
	v_fmac_f32_e32 v4, 0xcf800000, v5
	v_cvt_u32_f32_e32 v5, v5
	v_cvt_u32_f32_e32 v4, v4
	v_mul_lo_u32 v6, s0, v5
	v_mul_hi_u32 v11, s0, v4
	v_mul_lo_u32 v12, s26, v4
	v_add_nc_u32_e32 v6, v11, v6
	v_mul_lo_u32 v11, s0, v4
	v_add_nc_u32_e32 v6, v6, v12
	v_mul_hi_u32 v12, v4, v11
	v_mul_lo_u32 v13, v4, v6
	v_mul_hi_u32 v14, v4, v6
	v_mul_hi_u32 v15, v5, v11
	v_mul_lo_u32 v11, v5, v11
	v_mul_hi_u32 v16, v5, v6
	v_mul_lo_u32 v6, v5, v6
	v_add_co_u32 v12, vcc_lo, v12, v13
	v_add_co_ci_u32_e32 v13, vcc_lo, 0, v14, vcc_lo
	v_add_co_u32 v11, vcc_lo, v12, v11
	v_add_co_ci_u32_e32 v11, vcc_lo, v13, v15, vcc_lo
	v_add_co_ci_u32_e32 v12, vcc_lo, 0, v16, vcc_lo
	v_add_co_u32 v6, vcc_lo, v11, v6
	v_add_co_ci_u32_e32 v11, vcc_lo, 0, v12, vcc_lo
	v_add_co_u32 v4, vcc_lo, v4, v6
	v_add_co_ci_u32_e32 v5, vcc_lo, v5, v11, vcc_lo
	v_mul_hi_u32 v6, s0, v4
	v_mul_lo_u32 v12, s26, v4
	v_mul_lo_u32 v11, s0, v5
	v_add_nc_u32_e32 v6, v6, v11
	v_mul_lo_u32 v11, s0, v4
	v_add_nc_u32_e32 v6, v6, v12
	v_mul_hi_u32 v12, v4, v11
	v_mul_lo_u32 v13, v4, v6
	v_mul_hi_u32 v14, v4, v6
	v_mul_hi_u32 v15, v5, v11
	v_mul_lo_u32 v11, v5, v11
	v_mul_hi_u32 v16, v5, v6
	v_mul_lo_u32 v6, v5, v6
	v_add_co_u32 v12, vcc_lo, v12, v13
	v_add_co_ci_u32_e32 v13, vcc_lo, 0, v14, vcc_lo
	v_add_co_u32 v11, vcc_lo, v12, v11
	v_add_co_ci_u32_e32 v11, vcc_lo, v13, v15, vcc_lo
	v_add_co_ci_u32_e32 v12, vcc_lo, 0, v16, vcc_lo
	v_add_co_u32 v6, vcc_lo, v11, v6
	v_add_co_ci_u32_e32 v11, vcc_lo, 0, v12, vcc_lo
	v_add_co_u32 v6, vcc_lo, v4, v6
	v_add_co_ci_u32_e32 v13, vcc_lo, v5, v11, vcc_lo
	v_mul_hi_u32 v15, v9, v6
	v_mad_u64_u32 v[11:12], null, v10, v6, 0
	v_mad_u64_u32 v[4:5], null, v9, v13, 0
	;; [unrolled: 1-line block ×3, first 2 shown]
	v_add_co_u32 v4, vcc_lo, v15, v4
	v_add_co_ci_u32_e32 v5, vcc_lo, 0, v5, vcc_lo
	v_add_co_u32 v4, vcc_lo, v4, v11
	v_add_co_ci_u32_e32 v4, vcc_lo, v5, v12, vcc_lo
	v_add_co_ci_u32_e32 v5, vcc_lo, 0, v14, vcc_lo
	v_add_co_u32 v11, vcc_lo, v4, v13
	v_add_co_ci_u32_e32 v6, vcc_lo, 0, v5, vcc_lo
	v_mul_lo_u32 v12, s25, v11
	v_mad_u64_u32 v[4:5], null, s24, v11, 0
	v_mul_lo_u32 v13, s24, v6
	v_sub_co_u32 v4, vcc_lo, v9, v4
	v_add3_u32 v5, v5, v13, v12
	v_sub_nc_u32_e32 v12, v10, v5
	v_subrev_co_ci_u32_e64 v12, s0, s25, v12, vcc_lo
	v_add_co_u32 v13, s0, v11, 2
	v_add_co_ci_u32_e64 v14, s0, 0, v6, s0
	v_sub_co_u32 v15, s0, v4, s24
	v_sub_co_ci_u32_e32 v5, vcc_lo, v10, v5, vcc_lo
	v_subrev_co_ci_u32_e64 v12, s0, 0, v12, s0
	v_cmp_le_u32_e32 vcc_lo, s24, v15
	v_cmp_eq_u32_e64 s0, s25, v5
	v_cndmask_b32_e64 v15, 0, -1, vcc_lo
	v_cmp_le_u32_e32 vcc_lo, s25, v12
	v_cndmask_b32_e64 v16, 0, -1, vcc_lo
	v_cmp_le_u32_e32 vcc_lo, s24, v4
	;; [unrolled: 2-line block ×3, first 2 shown]
	v_cndmask_b32_e64 v17, 0, -1, vcc_lo
	v_cmp_eq_u32_e32 vcc_lo, s25, v12
	v_cndmask_b32_e64 v4, v17, v4, s0
	v_cndmask_b32_e32 v12, v16, v15, vcc_lo
	v_add_co_u32 v15, vcc_lo, v11, 1
	v_add_co_ci_u32_e32 v16, vcc_lo, 0, v6, vcc_lo
	v_cmp_ne_u32_e32 vcc_lo, 0, v12
	v_cndmask_b32_e32 v5, v16, v14, vcc_lo
	v_cndmask_b32_e32 v12, v15, v13, vcc_lo
	v_cmp_ne_u32_e32 vcc_lo, 0, v4
	v_cndmask_b32_e32 v6, v6, v5, vcc_lo
	v_cndmask_b32_e32 v5, v11, v12, vcc_lo
.LBB0_4:                                ;   in Loop: Header=BB0_2 Depth=1
	s_andn2_saveexec_b32 s0, s1
	s_cbranch_execz .LBB0_6
; %bb.5:                                ;   in Loop: Header=BB0_2 Depth=1
	v_cvt_f32_u32_e32 v4, s24
	s_sub_i32 s1, 0, s24
	v_rcp_iflag_f32_e32 v4, v4
	v_mul_f32_e32 v4, 0x4f7ffffe, v4
	v_cvt_u32_f32_e32 v4, v4
	v_mul_lo_u32 v5, s1, v4
	v_mul_hi_u32 v5, v4, v5
	v_add_nc_u32_e32 v4, v4, v5
	v_mul_hi_u32 v4, v9, v4
	v_mul_lo_u32 v5, v4, s24
	v_add_nc_u32_e32 v6, 1, v4
	v_sub_nc_u32_e32 v5, v9, v5
	v_subrev_nc_u32_e32 v11, s24, v5
	v_cmp_le_u32_e32 vcc_lo, s24, v5
	v_cndmask_b32_e32 v5, v5, v11, vcc_lo
	v_cndmask_b32_e32 v4, v4, v6, vcc_lo
	v_cmp_le_u32_e32 vcc_lo, s24, v5
	v_add_nc_u32_e32 v6, 1, v4
	v_cndmask_b32_e32 v5, v4, v6, vcc_lo
	v_mov_b32_e32 v6, v3
.LBB0_6:                                ;   in Loop: Header=BB0_2 Depth=1
	s_or_b32 exec_lo, exec_lo, s0
	v_mul_lo_u32 v4, v6, s24
	v_mul_lo_u32 v13, v5, s25
	s_load_dwordx2 s[0:1], s[6:7], 0x0
	v_mad_u64_u32 v[11:12], null, v5, s24, 0
	s_load_dwordx2 s[24:25], s[2:3], 0x0
	s_add_u32 s22, s22, 1
	s_addc_u32 s23, s23, 0
	s_add_u32 s2, s2, 8
	s_addc_u32 s3, s3, 0
	s_add_u32 s6, s6, 8
	v_add3_u32 v4, v12, v13, v4
	v_sub_co_u32 v9, vcc_lo, v9, v11
	s_addc_u32 s7, s7, 0
	s_add_u32 s20, s20, 8
	v_sub_co_ci_u32_e32 v4, vcc_lo, v10, v4, vcc_lo
	s_addc_u32 s21, s21, 0
	s_waitcnt lgkmcnt(0)
	v_mul_lo_u32 v10, s0, v4
	v_mul_lo_u32 v11, s1, v9
	v_mad_u64_u32 v[7:8], null, s0, v9, v[7:8]
	v_mul_lo_u32 v4, s24, v4
	v_mul_lo_u32 v12, s25, v9
	v_mad_u64_u32 v[1:2], null, s24, v9, v[1:2]
	v_cmp_ge_u64_e64 s0, s[22:23], s[14:15]
	v_add3_u32 v8, v11, v8, v10
	v_add3_u32 v2, v12, v2, v4
	s_and_b32 vcc_lo, exec_lo, s0
	s_cbranch_vccnz .LBB0_9
; %bb.7:                                ;   in Loop: Header=BB0_2 Depth=1
	v_mov_b32_e32 v10, v6
	v_mov_b32_e32 v9, v5
	s_branch .LBB0_2
.LBB0_8:
	v_mov_b32_e32 v1, v7
	v_mov_b32_e32 v5, v9
	;; [unrolled: 1-line block ×4, first 2 shown]
.LBB0_9:
	s_load_dwordx2 s[0:1], s[4:5], 0x28
	v_mul_hi_u32 v3, 0x226b903, v0
	s_lshl_b64 s[4:5], s[14:15], 3
	v_mov_b32_e32 v10, 0
	v_mov_b32_e32 v9, 0
	s_add_u32 s2, s18, s4
	s_addc_u32 s3, s19, s5
                                        ; implicit-def: $vgpr30
                                        ; implicit-def: $vgpr32
                                        ; implicit-def: $vgpr34
                                        ; implicit-def: $vgpr42
                                        ; implicit-def: $vgpr40
                                        ; implicit-def: $vgpr38
                                        ; implicit-def: $vgpr36
                                        ; implicit-def: $vgpr26
                                        ; implicit-def: $vgpr24
                                        ; implicit-def: $vgpr22
                                        ; implicit-def: $vgpr18
                                        ; implicit-def: $vgpr12
                                        ; implicit-def: $vgpr14
                                        ; implicit-def: $vgpr16
                                        ; implicit-def: $vgpr20
                                        ; implicit-def: $vgpr28
	v_mul_u32_u24_e32 v3, 0x77, v3
	v_sub_nc_u32_e32 v3, v0, v3
	s_waitcnt lgkmcnt(0)
	v_cmp_gt_u64_e32 vcc_lo, s[0:1], v[5:6]
	v_cmp_gt_u32_e64 s0, 0x54, v3
	s_and_b32 s1, vcc_lo, s0
	s_and_saveexec_b32 s6, s1
	s_cbranch_execz .LBB0_11
; %bb.10:
	s_add_u32 s4, s16, s4
	s_addc_u32 s5, s17, s5
	v_lshlrev_b64 v[7:8], 3, v[7:8]
	s_load_dwordx2 s[4:5], s[4:5], 0x0
	s_waitcnt lgkmcnt(0)
	v_mul_lo_u32 v0, s5, v5
	v_mul_lo_u32 v4, s4, v6
	v_mad_u64_u32 v[9:10], null, s4, v5, 0
	v_add3_u32 v10, v10, v4, v0
	v_mov_b32_e32 v4, 0
	v_lshlrev_b64 v[9:10], 3, v[9:10]
	v_add_co_u32 v0, s1, s8, v9
	v_add_co_ci_u32_e64 v11, s1, s9, v10, s1
	v_lshlrev_b64 v[9:10], 3, v[3:4]
	v_add_co_u32 v0, s1, v0, v7
	v_add_co_ci_u32_e64 v4, s1, v11, v8, s1
	v_add_co_u32 v7, s1, v0, v9
	v_add_co_ci_u32_e64 v8, s1, v4, v10, s1
	s_clause 0x3
	global_load_dwordx2 v[9:10], v[7:8], off
	global_load_dwordx2 v[29:30], v[7:8], off offset:672
	global_load_dwordx2 v[31:32], v[7:8], off offset:1344
	;; [unrolled: 1-line block ×3, first 2 shown]
	v_add_co_u32 v11, s1, 0x800, v7
	v_add_co_ci_u32_e64 v12, s1, 0, v8, s1
	v_add_co_u32 v13, s1, 0x1000, v7
	v_add_co_ci_u32_e64 v14, s1, 0, v8, s1
	;; [unrolled: 2-line block ×5, first 2 shown]
	s_clause 0xc
	global_load_dwordx2 v[41:42], v[11:12], off offset:640
	global_load_dwordx2 v[39:40], v[11:12], off offset:1312
	;; [unrolled: 1-line block ×13, first 2 shown]
.LBB0_11:
	s_or_b32 exec_lo, exec_lo, s6
	s_waitcnt vmcnt(0)
	v_add_f32_e32 v4, v29, v11
	v_sub_f32_e32 v45, v30, v12
	v_add_f32_e32 v7, v31, v13
	v_sub_f32_e32 v46, v32, v14
	v_add_f32_e32 v43, v33, v15
	v_mul_f32_e32 v61, 0x3dbcf732, v4
	v_mul_f32_e32 v69, 0xbe8c1d8e, v4
	;; [unrolled: 1-line block ×4, first 2 shown]
	v_sub_f32_e32 v47, v34, v16
	v_fmamk_f32 v0, v45, 0xbf7ee86f, v61
	v_fmamk_f32 v8, v45, 0xbf763a35, v69
	v_add_f32_e32 v44, v41, v19
	v_mul_f32_e32 v62, 0xbe8c1d8e, v43
	v_fmamk_f32 v48, v46, 0xbe3c28d5, v63
	v_add_f32_e32 v0, v9, v0
	v_fmamk_f32 v50, v46, 0x3f06c442, v67
	v_add_f32_e32 v8, v9, v8
	v_mul_f32_e32 v68, 0x3f3d2fb0, v43
	v_sub_f32_e32 v49, v42, v20
	v_fmamk_f32 v51, v47, 0x3f763a35, v62
	v_add_f32_e32 v0, v0, v48
	v_add_f32_e32 v48, v39, v27
	v_mul_f32_e32 v59, 0x3f6eb680, v44
	v_add_f32_e32 v8, v8, v50
	v_fmamk_f32 v50, v47, 0x3f2c7751, v68
	v_mul_f32_e32 v71, 0x3ee437d1, v44
	v_add_f32_e32 v0, v0, v51
	v_fmamk_f32 v52, v49, 0x3eb8f4ab, v59
	v_sub_f32_e32 v51, v40, v28
	v_mul_f32_e32 v60, 0x3ee437d1, v48
	v_add_f32_e32 v8, v8, v50
	v_fmamk_f32 v53, v49, 0xbf65296c, v71
	v_mul_f32_e32 v65, 0xbf7ba420, v48
	v_add_f32_e32 v50, v37, v17
	v_add_f32_e32 v0, v0, v52
	v_fmamk_f32 v52, v51, 0xbf65296c, v60
	v_add_f32_e32 v8, v8, v53
	v_fmamk_f32 v54, v51, 0xbe3c28d5, v65
	v_sub_f32_e32 v53, v38, v18
	v_mul_f32_e32 v64, 0xbf59a7d5, v50
	v_mul_f32_e32 v70, 0x3dbcf732, v50
	v_add_f32_e32 v0, v0, v52
	v_add_f32_e32 v52, v35, v21
	;; [unrolled: 1-line block ×3, first 2 shown]
	v_fmamk_f32 v54, v53, 0xbf06c442, v64
	v_fmamk_f32 v56, v53, 0x3f7ee86f, v70
	v_sub_f32_e32 v55, v36, v22
	v_mul_f32_e32 v57, 0xbf1a4643, v52
	v_mul_f32_e32 v72, 0x3f6eb680, v52
	v_add_f32_e32 v0, v54, v0
	v_add_f32_e32 v54, v25, v23
	;; [unrolled: 1-line block ×3, first 2 shown]
	v_fmamk_f32 v73, v55, 0x3f4c4adb, v57
	v_fmamk_f32 v74, v55, 0xbeb8f4ab, v72
	v_sub_f32_e32 v56, v26, v24
	v_mul_f32_e32 v58, 0x3f3d2fb0, v54
	v_mul_f32_e32 v66, 0xbf1a4643, v54
	v_add_f32_e32 v0, v73, v0
	v_add_f32_e32 v8, v74, v8
	v_fmamk_f32 v73, v56, 0x3f2c7751, v58
	v_fmamk_f32 v74, v56, 0xbf4c4adb, v66
	v_add_f32_e32 v0, v73, v0
	v_add_f32_e32 v8, v74, v8
	s_and_saveexec_b32 s1, s0
	s_cbranch_execz .LBB0_13
; %bb.12:
	v_mul_f32_e32 v73, 0xbe3c28d5, v45
	v_mul_f32_e32 v74, 0x3eb8f4ab, v46
	;; [unrolled: 1-line block ×5, first 2 shown]
	v_fmamk_f32 v78, v4, 0xbf7ba420, v73
	v_fma_f32 v73, 0xbf7ba420, v4, -v73
	v_fmamk_f32 v81, v7, 0x3f6eb680, v74
	v_fma_f32 v74, 0x3f6eb680, v7, -v74
	v_fmamk_f32 v83, v43, 0xbf59a7d5, v77
	v_add_f32_e32 v78, v9, v78
	v_add_f32_e32 v73, v9, v73
	v_fma_f32 v77, 0xbf59a7d5, v43, -v77
	v_mul_f32_e32 v80, 0xbf4c4adb, v51
	v_mul_f32_e32 v76, 0x3f65296c, v46
	v_add_f32_e32 v78, v78, v81
	v_add_f32_e32 v73, v73, v74
	v_fmamk_f32 v74, v44, 0x3f3d2fb0, v79
	v_fma_f32 v79, 0x3f3d2fb0, v44, -v79
	v_mul_f32_e32 v82, 0x3f65296c, v53
	v_add_f32_e32 v78, v78, v83
	v_add_f32_e32 v73, v73, v77
	v_fmamk_f32 v83, v4, 0xbf59a7d5, v75
	v_fmamk_f32 v77, v48, 0xbf1a4643, v80
	v_fma_f32 v80, 0xbf1a4643, v48, -v80
	v_add_f32_e32 v74, v78, v74
	v_add_f32_e32 v73, v73, v79
	v_mul_f32_e32 v81, 0xbf763a35, v55
	v_fmamk_f32 v78, v7, 0x3ee437d1, v76
	v_fmamk_f32 v79, v50, 0x3ee437d1, v82
	v_add_f32_e32 v74, v74, v77
	v_fma_f32 v77, 0x3ee437d1, v50, -v82
	v_add_f32_e32 v82, v9, v83
	v_add_f32_e32 v73, v73, v80
	v_mul_f32_e32 v80, 0xbf7ee86f, v47
	v_add_f32_e32 v74, v79, v74
	v_fmamk_f32 v79, v52, 0xbe8c1d8e, v81
	v_add_f32_e32 v78, v82, v78
	v_add_f32_e32 v73, v77, v73
	v_fmamk_f32 v77, v43, 0x3dbcf732, v80
	v_mul_f32_e32 v82, 0x3f4c4adb, v49
	v_add_f32_e32 v74, v79, v74
	v_fma_f32 v79, 0xbe8c1d8e, v52, -v81
	v_mul_f32_e32 v81, 0x3f7ee86f, v56
	v_add_f32_e32 v77, v78, v77
	v_fmamk_f32 v78, v44, 0xbf1a4643, v82
	v_mul_f32_e32 v83, 0xbeb8f4ab, v51
	v_add_f32_e32 v73, v79, v73
	v_fmamk_f32 v79, v54, 0x3dbcf732, v81
	v_fma_f32 v75, 0xbf59a7d5, v4, -v75
	v_add_f32_e32 v77, v77, v78
	v_fmamk_f32 v78, v48, 0x3f6eb680, v83
	v_mul_f32_e32 v84, 0xbe3c28d5, v53
	v_add_f32_e32 v74, v79, v74
	v_add_f32_e32 v75, v9, v75
	v_fma_f32 v76, 0x3ee437d1, v7, -v76
	v_add_f32_e32 v77, v77, v78
	v_fmamk_f32 v78, v50, 0xbf7ba420, v84
	v_mul_f32_e32 v79, 0x3f2c7751, v55
	v_fma_f32 v81, 0x3dbcf732, v54, -v81
	v_add_f32_e32 v75, v75, v76
	v_fma_f32 v76, 0x3dbcf732, v43, -v80
	v_add_f32_e32 v77, v78, v77
	v_fmamk_f32 v78, v52, 0x3f3d2fb0, v79
	v_mul_f32_e32 v80, 0xbf4c4adb, v45
	v_add_f32_e32 v73, v81, v73
	v_add_f32_e32 v75, v75, v76
	v_fma_f32 v76, 0xbf1a4643, v44, -v82
	v_add_f32_e32 v77, v78, v77
	v_fmamk_f32 v78, v4, 0xbf1a4643, v80
	v_mul_f32_e32 v81, 0x3f763a35, v46
	v_mul_f32_e32 v85, 0xbeb8f4ab, v47
	v_add_f32_e32 v75, v75, v76
	v_fma_f32 v76, 0x3f6eb680, v48, -v83
	v_add_f32_e32 v78, v9, v78
	v_fmamk_f32 v83, v7, 0xbe8c1d8e, v81
	v_mul_f32_e32 v82, 0xbf763a35, v56
	v_fma_f32 v79, 0x3f3d2fb0, v52, -v79
	v_add_f32_e32 v75, v75, v76
	v_fma_f32 v76, 0xbf7ba420, v50, -v84
	v_add_f32_e32 v78, v78, v83
	v_fmamk_f32 v83, v43, 0x3f6eb680, v85
	v_mul_f32_e32 v84, 0xbf06c442, v49
	v_fmamk_f32 v86, v54, 0xbe8c1d8e, v82
	v_add_f32_e32 v75, v76, v75
	v_fma_f32 v76, 0xbf1a4643, v4, -v80
	v_add_f32_e32 v78, v78, v83
	v_fmamk_f32 v80, v44, 0xbf59a7d5, v84
	v_mul_f32_e32 v83, 0x3f7ee86f, v51
	v_add_f32_e32 v77, v86, v77
	v_add_f32_e32 v76, v9, v76
	v_fma_f32 v81, 0xbe8c1d8e, v7, -v81
	v_add_f32_e32 v78, v78, v80
	v_fmamk_f32 v80, v48, 0x3dbcf732, v83
	v_mul_f32_e32 v86, 0xbf2c7751, v53
	v_add_f32_e32 v75, v79, v75
	v_add_f32_e32 v76, v76, v81
	v_fma_f32 v79, 0x3f6eb680, v43, -v85
	v_add_f32_e32 v78, v78, v80
	v_fmamk_f32 v80, v50, 0x3f3d2fb0, v86
	v_mul_f32_e32 v81, 0xbe3c28d5, v55
	v_fma_f32 v82, 0xbe8c1d8e, v54, -v82
	v_add_f32_e32 v76, v76, v79
	v_fma_f32 v79, 0xbf59a7d5, v44, -v84
	v_add_f32_e32 v78, v80, v78
	v_fmamk_f32 v80, v52, 0xbf7ba420, v81
	v_add_f32_e32 v75, v82, v75
	v_mul_f32_e32 v82, 0xbf763a35, v45
	v_add_f32_e32 v76, v76, v79
	v_fma_f32 v79, 0x3dbcf732, v48, -v83
	v_add_f32_e32 v78, v80, v78
	v_mul_f32_e32 v80, 0x3f06c442, v46
	v_sub_f32_e32 v69, v69, v82
	v_mul_f32_e32 v82, 0x3f65296c, v56
	v_add_f32_e32 v76, v76, v79
	v_fma_f32 v79, 0x3f3d2fb0, v50, -v86
	v_sub_f32_e32 v67, v67, v80
	v_add_f32_e32 v69, v9, v69
	v_mul_f32_e32 v80, 0x3f2c7751, v47
	v_fmamk_f32 v83, v54, 0x3ee437d1, v82
	v_add_f32_e32 v76, v79, v76
	v_fma_f32 v79, 0xbf7ba420, v52, -v81
	v_add_f32_e32 v67, v69, v67
	v_sub_f32_e32 v68, v68, v80
	v_mul_f32_e32 v69, 0xbf65296c, v49
	v_add_f32_e32 v78, v83, v78
	v_add_f32_e32 v76, v79, v76
	v_fma_f32 v79, 0x3ee437d1, v54, -v82
	v_add_f32_e32 v67, v67, v68
	v_sub_f32_e32 v68, v71, v69
	v_mul_f32_e32 v69, 0xbf7ee86f, v45
	v_mul_f32_e32 v71, 0xbe3c28d5, v51
	v_add_f32_e32 v76, v79, v76
	v_mul_f32_e32 v79, 0xbe3c28d5, v46
	v_add_f32_e32 v67, v67, v68
	v_sub_f32_e32 v61, v61, v69
	v_sub_f32_e32 v65, v65, v71
	v_mul_f32_e32 v69, 0x3f763a35, v47
	v_sub_f32_e32 v63, v63, v79
	v_mul_f32_e32 v68, 0x3f7ee86f, v53
	v_add_f32_e32 v61, v9, v61
	v_add_f32_e32 v65, v67, v65
	v_mul_f32_e32 v67, 0x3eb8f4ab, v49
	v_sub_f32_e32 v62, v62, v69
	v_sub_f32_e32 v68, v70, v68
	v_add_f32_e32 v61, v61, v63
	v_mul_f32_e32 v70, 0xbf65296c, v51
	v_sub_f32_e32 v59, v59, v67
	v_mul_f32_e32 v63, 0xbeb8f4ab, v55
	v_mul_f32_e32 v69, 0xbf06c442, v53
	v_add_f32_e32 v61, v61, v62
	v_sub_f32_e32 v60, v60, v70
	v_add_f32_e32 v65, v68, v65
	v_sub_f32_e32 v63, v72, v63
	v_mul_f32_e32 v71, 0xbf65296c, v45
	v_add_f32_e32 v59, v61, v59
	v_mul_f32_e32 v68, 0x3f4c4adb, v55
	v_mul_f32_e32 v62, 0xbf4c4adb, v56
	v_add_f32_e32 v63, v63, v65
	v_fmamk_f32 v65, v4, 0x3ee437d1, v71
	v_add_f32_e32 v59, v59, v60
	v_sub_f32_e32 v60, v64, v69
	v_mul_f32_e32 v67, 0xbf4c4adb, v46
	v_sub_f32_e32 v62, v66, v62
	v_add_f32_e32 v61, v9, v65
	v_mul_f32_e32 v66, 0x3e3c28d5, v47
	v_add_f32_e32 v59, v60, v59
	v_fma_f32 v60, 0x3ee437d1, v4, -v71
	v_fmamk_f32 v65, v7, 0xbf1a4643, v67
	v_mul_f32_e32 v70, 0x3f2c7751, v56
	v_sub_f32_e32 v57, v57, v68
	v_fma_f32 v67, 0xbf1a4643, v7, -v67
	v_add_f32_e32 v60, v9, v60
	v_add_f32_e32 v61, v61, v65
	v_fmamk_f32 v64, v43, 0xbf7ba420, v66
	v_mul_f32_e32 v65, 0x3f763a35, v49
	v_add_f32_e32 v57, v57, v59
	v_add_f32_e32 v59, v60, v67
	v_fma_f32 v60, 0xbf7ba420, v43, -v66
	v_sub_f32_e32 v58, v58, v70
	v_add_f32_e32 v62, v62, v63
	v_add_f32_e32 v61, v61, v64
	v_fmamk_f32 v63, v44, 0xbe8c1d8e, v65
	v_mul_f32_e32 v64, 0x3f2c7751, v51
	v_add_f32_e32 v59, v59, v60
	v_fma_f32 v60, 0xbe8c1d8e, v44, -v65
	v_add_f32_e32 v57, v58, v57
	v_mul_f32_e32 v58, 0xbf2c7751, v45
	v_add_f32_e32 v61, v61, v63
	v_fmamk_f32 v63, v48, 0x3f3d2fb0, v64
	v_mul_f32_e32 v68, 0xbeb8f4ab, v53
	v_add_f32_e32 v59, v59, v60
	v_fma_f32 v60, 0x3f3d2fb0, v48, -v64
	v_fmamk_f32 v64, v4, 0x3f3d2fb0, v58
	v_mul_f32_e32 v65, 0xbf7ee86f, v46
	v_add_f32_e32 v61, v61, v63
	v_fmamk_f32 v63, v50, 0x3f6eb680, v68
	v_mul_f32_e32 v66, 0xbf7ee86f, v55
	v_add_f32_e32 v59, v59, v60
	v_fma_f32 v60, 0x3f6eb680, v50, -v68
	v_add_f32_e32 v64, v9, v64
	v_fmamk_f32 v68, v7, 0x3dbcf732, v65
	v_mul_f32_e32 v69, 0xbf4c4adb, v47
	v_add_f32_e32 v61, v63, v61
	v_fmamk_f32 v63, v52, 0x3dbcf732, v66
	v_add_f32_e32 v59, v60, v59
	v_fma_f32 v60, 0x3dbcf732, v52, -v66
	v_fma_f32 v58, 0x3f3d2fb0, v4, -v58
	v_add_f32_e32 v64, v64, v68
	v_fmamk_f32 v66, v43, 0xbf1a4643, v69
	v_mul_f32_e32 v68, 0xbe3c28d5, v49
	v_add_f32_e32 v59, v60, v59
	v_add_f32_e32 v58, v9, v58
	v_fma_f32 v60, 0x3dbcf732, v7, -v65
	v_add_f32_e32 v64, v64, v66
	v_fmamk_f32 v65, v44, 0xbf7ba420, v68
	v_mul_f32_e32 v66, 0x3f06c442, v51
	v_add_f32_e32 v61, v63, v61
	v_add_f32_e32 v58, v58, v60
	v_fma_f32 v60, 0xbf1a4643, v43, -v69
	v_add_f32_e32 v64, v64, v65
	v_add_f32_e32 v65, v9, v29
	v_mul_f32_e32 v63, 0xbf06c442, v56
	v_fmamk_f32 v69, v48, 0xbf59a7d5, v66
	v_add_f32_e32 v58, v58, v60
	v_fma_f32 v60, 0xbf7ba420, v44, -v68
	v_add_f32_e32 v65, v65, v31
	v_mul_f32_e32 v70, 0x3f763a35, v53
	v_fmamk_f32 v67, v54, 0xbf59a7d5, v63
	v_fma_f32 v63, 0xbf59a7d5, v54, -v63
	v_add_f32_e32 v58, v58, v60
	v_add_f32_e32 v60, v65, v33
	;; [unrolled: 1-line block ×3, first 2 shown]
	v_fmamk_f32 v68, v50, 0xbe8c1d8e, v70
	v_fma_f32 v65, 0xbf59a7d5, v48, -v66
	v_mul_f32_e32 v45, 0xbeb8f4ab, v45
	v_add_f32_e32 v60, v60, v41
	v_mul_f32_e32 v69, 0x3f65296c, v55
	v_add_f32_e32 v64, v68, v64
	v_add_f32_e32 v59, v63, v59
	;; [unrolled: 1-line block ×4, first 2 shown]
	v_fma_f32 v63, 0xbe8c1d8e, v50, -v70
	v_fma_f32 v68, 0x3f6eb680, v4, -v45
	v_fmamk_f32 v4, v4, 0x3f6eb680, v45
	v_mul_f32_e32 v46, 0xbf2c7751, v46
	v_add_f32_e32 v60, v60, v37
	v_add_f32_e32 v58, v63, v58
	v_fma_f32 v63, 0x3ee437d1, v52, -v69
	v_add_f32_e32 v4, v9, v4
	v_mul_f32_e32 v47, 0xbf65296c, v47
	v_add_f32_e32 v45, v60, v35
	v_add_f32_e32 v60, v9, v68
	;; [unrolled: 1-line block ×3, first 2 shown]
	v_fma_f32 v63, 0x3f3d2fb0, v7, -v46
	v_fmamk_f32 v7, v7, 0x3f3d2fb0, v46
	v_add_f32_e32 v9, v45, v25
	v_fma_f32 v46, 0x3ee437d1, v43, -v47
	v_mul_f32_e32 v49, 0xbf7ee86f, v49
	v_add_f32_e32 v45, v60, v63
	v_add_f32_e32 v4, v4, v7
	;; [unrolled: 1-line block ×3, first 2 shown]
	v_fmamk_f32 v7, v43, 0x3ee437d1, v47
	v_mul_f32_e32 v65, 0x3eb8f4ab, v56
	v_add_f32_e32 v43, v45, v46
	v_fma_f32 v45, 0x3dbcf732, v44, -v49
	v_add_f32_e32 v9, v9, v21
	v_mul_f32_e32 v46, 0xbf763a35, v51
	v_add_f32_e32 v4, v4, v7
	v_fmamk_f32 v7, v44, 0x3dbcf732, v49
	v_add_f32_e32 v43, v43, v45
	v_add_f32_e32 v9, v9, v17
	v_fma_f32 v44, 0xbe8c1d8e, v48, -v46
	v_mul_f32_e32 v45, 0xbf4c4adb, v53
	v_add_f32_e32 v4, v4, v7
	v_fmamk_f32 v7, v48, 0xbe8c1d8e, v46
	v_add_f32_e32 v9, v9, v27
	v_add_f32_e32 v43, v43, v44
	v_fma_f32 v44, 0xbf1a4643, v50, -v45
	v_mul_f32_e32 v46, 0xbf06c442, v55
	v_add_f32_e32 v4, v4, v7
	v_add_f32_e32 v7, v19, v9
	v_fmamk_f32 v9, v50, 0xbf1a4643, v45
	v_add_f32_e32 v43, v44, v43
	v_fma_f32 v44, 0xbf59a7d5, v52, -v46
	v_mul_f32_e32 v45, 0xbe3c28d5, v56
	v_add_f32_e32 v7, v15, v7
	v_fmamk_f32 v66, v52, 0x3ee437d1, v69
	v_add_f32_e32 v4, v9, v4
	v_fmamk_f32 v9, v52, 0xbf59a7d5, v46
	v_add_f32_e32 v43, v44, v43
	v_fma_f32 v44, 0xbf7ba420, v54, -v45
	v_add_f32_e32 v7, v13, v7
	v_fma_f32 v46, 0x3f6eb680, v54, -v65
	v_add_f32_e32 v64, v66, v64
	v_fmamk_f32 v66, v54, 0x3f6eb680, v65
	v_add_f32_e32 v4, v9, v4
	v_fmamk_f32 v9, v54, 0xbf7ba420, v45
	v_add_f32_e32 v43, v44, v43
	v_add_f32_e32 v7, v11, v7
	v_mad_u32_u24 v44, 0x44, v3, 0
	v_add_f32_e32 v45, v46, v58
	v_add_f32_e32 v46, v67, v61
	;; [unrolled: 1-line block ×4, first 2 shown]
	ds_write2_b32 v44, v7, v43 offset1:1
	ds_write2_b32 v44, v45, v59 offset0:2 offset1:3
	ds_write2_b32 v44, v57, v62 offset0:4 offset1:5
	;; [unrolled: 1-line block ×7, first 2 shown]
	ds_write_b32 v44, v4 offset:64
.LBB0_13:
	s_or_b32 exec_lo, exec_lo, s1
	v_sub_f32_e32 v76, v29, v11
	v_add_f32_e32 v73, v30, v12
	v_sub_f32_e32 v70, v31, v13
	v_add_f32_e32 v69, v32, v14
	v_sub_f32_e32 v66, v33, v15
	v_mul_f32_e32 v75, 0xbf7ee86f, v76
	v_mul_f32_e32 v74, 0xbf763a35, v76
	;; [unrolled: 1-line block ×3, first 2 shown]
	v_add_f32_e32 v65, v34, v16
	v_mul_f32_e32 v68, 0x3f763a35, v66
	v_fma_f32 v4, 0x3dbcf732, v73, -v75
	v_sub_f32_e32 v62, v41, v19
	v_fma_f32 v9, 0xbf7ba420, v69, -v72
	v_mul_f32_e32 v71, 0x3f06c442, v70
	v_fma_f32 v7, 0xbe8c1d8e, v73, -v74
	v_add_f32_e32 v4, v10, v4
	v_add_f32_e32 v61, v42, v20
	v_mul_f32_e32 v64, 0x3eb8f4ab, v62
	v_sub_f32_e32 v58, v39, v27
	v_fma_f32 v11, 0xbf59a7d5, v69, -v71
	v_add_f32_e32 v4, v4, v9
	v_fma_f32 v9, 0xbe8c1d8e, v65, -v68
	v_add_f32_e32 v7, v10, v7
	v_mul_f32_e32 v67, 0x3f2c7751, v66
	v_add_f32_e32 v56, v40, v28
	v_mul_f32_e32 v60, 0xbf65296c, v58
	v_add_f32_e32 v4, v4, v9
	v_fma_f32 v9, 0x3f6eb680, v61, -v64
	v_sub_f32_e32 v39, v37, v17
	v_add_f32_e32 v7, v7, v11
	v_fma_f32 v11, 0x3f3d2fb0, v65, -v67
	v_mul_f32_e32 v63, 0xbf65296c, v62
	v_add_f32_e32 v4, v4, v9
	v_fma_f32 v9, 0x3ee437d1, v56, -v60
	v_add_f32_e32 v37, v38, v18
	v_mul_f32_e32 v55, 0xbf06c442, v39
	v_add_f32_e32 v7, v7, v11
	v_fma_f32 v11, 0x3ee437d1, v61, -v63
	v_mul_f32_e32 v59, 0xbe3c28d5, v58
	v_add_f32_e32 v4, v4, v9
	v_fma_f32 v9, 0xbf59a7d5, v37, -v55
	;; [unrolled: 3-line block ×3, first 2 shown]
	v_sub_f32_e32 v27, v35, v21
	v_add_f32_e32 v35, v9, v4
	v_lshl_add_u32 v4, v3, 2, 0
	v_sub_f32_e32 v9, v25, v23
	v_add_f32_e32 v7, v7, v11
	v_fma_f32 v11, 0x3dbcf732, v37, -v41
	s_waitcnt lgkmcnt(0)
	v_add_nc_u32_e32 v15, 0xa00, v4
	v_add_nc_u32_e32 v17, 0x200, v4
	;; [unrolled: 1-line block ×4, first 2 shown]
	v_add_f32_e32 v11, v11, v7
	v_add_nc_u32_e32 v7, 0x1200, v4
	s_barrier
	buffer_gl0_inv
	ds_read2_b32 v[49:50], v4 offset1:119
	ds_read2_b32 v[47:48], v15 offset0:74 offset1:193
	ds_read2_b32 v[51:52], v17 offset0:110 offset1:229
	;; [unrolled: 1-line block ×5, first 2 shown]
	v_add_f32_e32 v21, v36, v22
	v_mul_f32_e32 v33, 0x3f4c4adb, v27
	v_mul_f32_e32 v31, 0xbeb8f4ab, v27
	v_add_f32_e32 v13, v26, v24
	v_mul_f32_e32 v29, 0x3f2c7751, v9
	v_mul_f32_e32 v25, 0xbf4c4adb, v9
	v_fma_f32 v57, 0xbf1a4643, v21, -v33
	v_fma_f32 v77, 0x3f6eb680, v21, -v31
	s_waitcnt lgkmcnt(0)
	s_barrier
	buffer_gl0_inv
	v_add_f32_e32 v35, v57, v35
	v_add_f32_e32 v11, v77, v11
	v_fma_f32 v57, 0x3f3d2fb0, v13, -v29
	v_fma_f32 v77, 0xbf1a4643, v13, -v25
	v_add_f32_e32 v57, v57, v35
	v_add_f32_e32 v11, v77, v11
	s_and_saveexec_b32 s1, s0
	s_cbranch_execz .LBB0_15
; %bb.14:
	v_add_f32_e32 v30, v10, v30
	v_mul_f32_e32 v35, 0x3dbcf732, v73
	v_mul_f32_e32 v77, 0xbe8c1d8e, v73
	;; [unrolled: 1-line block ×4, first 2 shown]
	v_add_f32_e32 v30, v30, v32
	v_mul_f32_e32 v91, 0xbf4c4adb, v76
	v_mul_f32_e32 v78, 0xbf7ba420, v69
	;; [unrolled: 1-line block ×3, first 2 shown]
	v_add_f32_e32 v35, v35, v75
	v_add_f32_e32 v30, v30, v34
	v_mul_f32_e32 v79, 0xbf59a7d5, v69
	v_mul_f32_e32 v93, 0xbf7ee86f, v70
	v_fmamk_f32 v95, v73, 0x3f3d2fb0, v89
	v_add_f32_e32 v35, v10, v35
	v_add_f32_e32 v30, v30, v42
	;; [unrolled: 1-line block ×3, first 2 shown]
	v_fma_f32 v75, 0xbf1a4643, v73, -v91
	v_mul_f32_e32 v32, 0xbe8c1d8e, v65
	v_mul_f32_e32 v80, 0x3f3d2fb0, v65
	v_add_f32_e32 v30, v30, v40
	v_mul_f32_e32 v40, 0xbeb8f4ab, v76
	v_mul_f32_e32 v81, 0x3f6eb680, v61
	v_add_f32_e32 v32, v32, v68
	v_add_f32_e32 v67, v80, v67
	;; [unrolled: 1-line block ×3, first 2 shown]
	v_mul_f32_e32 v38, 0xbf06c442, v76
	v_mul_f32_e32 v76, 0xbe3c28d5, v76
	v_fmamk_f32 v94, v73, 0x3f6eb680, v40
	v_fma_f32 v40, 0x3f6eb680, v73, -v40
	v_add_f32_e32 v30, v30, v36
	v_mul_f32_e32 v36, 0xbf4c4adb, v70
	v_mul_f32_e32 v82, 0x3ee437d1, v61
	;; [unrolled: 1-line block ×3, first 2 shown]
	v_add_f32_e32 v40, v10, v40
	v_add_f32_e32 v26, v30, v26
	v_fma_f32 v30, 0x3f3d2fb0, v73, -v89
	v_fmamk_f32 v89, v73, 0x3ee437d1, v90
	v_fma_f32 v90, 0x3ee437d1, v73, -v90
	v_add_f32_e32 v63, v82, v63
	v_add_f32_e32 v24, v26, v24
	;; [unrolled: 1-line block ×3, first 2 shown]
	v_fmamk_f32 v77, v73, 0xbf59a7d5, v38
	v_fmamk_f32 v74, v73, 0xbf1a4643, v91
	;; [unrolled: 1-line block ×3, first 2 shown]
	v_add_f32_e32 v22, v24, v22
	v_fma_f32 v24, 0xbf59a7d5, v73, -v38
	v_fmamk_f32 v38, v73, 0xbf7ba420, v76
	v_add_f32_e32 v26, v10, v26
	v_fma_f32 v73, 0xbf7ba420, v73, -v76
	v_add_f32_e32 v18, v22, v18
	v_fma_f32 v22, 0x3f3d2fb0, v69, -v92
	v_add_f32_e32 v24, v10, v24
	v_add_f32_e32 v26, v26, v71
	v_fmamk_f32 v76, v69, 0x3f3d2fb0, v92
	v_add_f32_e32 v18, v18, v28
	v_add_f32_e32 v22, v40, v22
	v_mul_f32_e32 v40, 0x3f763a35, v70
	v_fma_f32 v92, 0x3dbcf732, v69, -v93
	v_fmamk_f32 v93, v69, 0xbf1a4643, v36
	v_add_f32_e32 v18, v20, v18
	v_add_f32_e32 v28, v10, v94
	;; [unrolled: 1-line block ×13, first 2 shown]
	v_fmamk_f32 v72, v69, 0xbe8c1d8e, v40
	v_add_f32_e32 v10, v10, v73
	v_fma_f32 v36, 0xbf1a4643, v69, -v36
	v_fma_f32 v40, 0xbe8c1d8e, v69, -v40
	v_add_f32_e32 v35, v35, v38
	v_mul_f32_e32 v38, 0x3f65296c, v70
	v_mul_f32_e32 v70, 0x3eb8f4ab, v70
	v_add_f32_e32 v18, v18, v72
	v_mul_f32_e32 v73, 0xbf65296c, v66
	v_add_f32_e32 v30, v30, v92
	v_fmamk_f32 v71, v69, 0x3ee437d1, v38
	v_fma_f32 v38, 0x3ee437d1, v69, -v38
	v_fmamk_f32 v72, v69, 0x3f6eb680, v70
	v_fma_f32 v69, 0x3f6eb680, v69, -v70
	v_fmamk_f32 v70, v65, 0x3ee437d1, v73
	v_add_f32_e32 v40, v74, v40
	v_add_f32_e32 v24, v24, v38
	v_mul_f32_e32 v38, 0xbf4c4adb, v66
	v_add_f32_e32 v10, v10, v69
	v_fma_f32 v69, 0x3ee437d1, v65, -v73
	v_add_f32_e32 v16, v16, v72
	v_mul_f32_e32 v72, 0x3e3c28d5, v66
	v_fmamk_f32 v73, v65, 0xbf1a4643, v38
	v_fma_f32 v38, 0xbf1a4643, v65, -v38
	v_add_f32_e32 v32, v35, v32
	v_mul_f32_e32 v35, 0xbf7ee86f, v66
	v_add_f32_e32 v28, v28, v76
	v_add_f32_e32 v26, v26, v67
	;; [unrolled: 1-line block ×3, first 2 shown]
	v_mul_f32_e32 v38, 0xbeb8f4ab, v66
	v_mul_f32_e32 v66, 0xbf06c442, v66
	v_fmamk_f32 v67, v65, 0x3dbcf732, v35
	v_fma_f32 v35, 0x3dbcf732, v65, -v35
	v_add_f32_e32 v20, v20, v93
	v_fmamk_f32 v68, v65, 0x3f6eb680, v38
	v_fma_f32 v38, 0x3f6eb680, v65, -v38
	v_add_f32_e32 v28, v28, v70
	v_add_f32_e32 v22, v22, v69
	v_fmamk_f32 v69, v65, 0xbf7ba420, v72
	v_add_f32_e32 v18, v18, v68
	v_add_f32_e32 v38, v40, v38
	v_fmamk_f32 v40, v65, 0xbf59a7d5, v66
	v_mul_f32_e32 v68, 0xbf7ee86f, v62
	v_fma_f32 v70, 0xbf7ba420, v65, -v72
	v_fma_f32 v65, 0xbf59a7d5, v65, -v66
	v_add_f32_e32 v24, v24, v35
	v_add_f32_e32 v16, v16, v40
	v_mul_f32_e32 v35, 0xbe3c28d5, v62
	v_fmamk_f32 v40, v61, 0x3dbcf732, v68
	v_mul_f32_e32 v66, 0x3f763a35, v62
	v_add_f32_e32 v20, v20, v69
	v_add_f32_e32 v10, v10, v65
	v_fma_f32 v65, 0x3dbcf732, v61, -v68
	v_fmamk_f32 v68, v61, 0xbf7ba420, v35
	v_add_f32_e32 v28, v28, v40
	v_fma_f32 v35, 0xbf7ba420, v61, -v35
	v_fmamk_f32 v40, v61, 0xbe8c1d8e, v66
	v_add_f32_e32 v26, v26, v63
	v_add_f32_e32 v22, v22, v65
	v_fma_f32 v65, 0xbe8c1d8e, v61, -v66
	v_add_f32_e32 v30, v30, v35
	v_add_f32_e32 v35, v81, v64
	;; [unrolled: 1-line block ×3, first 2 shown]
	v_mul_f32_e32 v40, 0xbf06c442, v62
	v_mul_f32_e32 v83, 0xbf7ba420, v56
	v_add_f32_e32 v34, v34, v60
	v_add_f32_e32 v32, v32, v35
	v_mul_f32_e32 v35, 0x3f4c4adb, v62
	v_fmamk_f32 v64, v61, 0xbf59a7d5, v40
	v_fma_f32 v40, 0xbf59a7d5, v61, -v40
	v_mul_f32_e32 v62, 0x3f2c7751, v62
	v_add_f32_e32 v32, v32, v34
	v_fmamk_f32 v63, v61, 0xbf1a4643, v35
	v_add_f32_e32 v18, v18, v64
	v_add_f32_e32 v38, v38, v40
	v_fma_f32 v35, 0xbf1a4643, v61, -v35
	v_fmamk_f32 v40, v61, 0x3f3d2fb0, v62
	v_mul_f32_e32 v64, 0xbf763a35, v58
	v_fma_f32 v61, 0x3f3d2fb0, v61, -v62
	v_mul_f32_e32 v62, 0x3f2c7751, v58
	v_add_f32_e32 v24, v24, v35
	v_add_f32_e32 v16, v16, v40
	v_mul_f32_e32 v35, 0x3f06c442, v58
	v_fmamk_f32 v40, v56, 0xbe8c1d8e, v64
	v_add_f32_e32 v10, v10, v61
	v_fma_f32 v61, 0xbe8c1d8e, v56, -v64
	v_mul_f32_e32 v34, 0xbeb8f4ab, v58
	v_fmamk_f32 v64, v56, 0xbf59a7d5, v35
	v_add_f32_e32 v28, v28, v40
	v_fma_f32 v35, 0xbf59a7d5, v56, -v35
	v_fmamk_f32 v40, v56, 0x3f3d2fb0, v62
	v_add_f32_e32 v36, v89, v36
	v_mul_f32_e32 v84, 0xbf59a7d5, v37
	v_add_f32_e32 v22, v22, v61
	v_add_f32_e32 v30, v30, v35
	;; [unrolled: 1-line block ×3, first 2 shown]
	v_mul_f32_e32 v35, 0x3f7ee86f, v58
	v_add_f32_e32 v40, v83, v59
	v_add_f32_e32 v36, v36, v70
	v_fma_f32 v61, 0x3f3d2fb0, v56, -v62
	v_mul_f32_e32 v85, 0x3dbcf732, v37
	v_fmamk_f32 v59, v56, 0x3dbcf732, v35
	v_fma_f32 v35, 0x3dbcf732, v56, -v35
	v_add_f32_e32 v26, v26, v40
	v_mul_f32_e32 v40, 0xbf4c4adb, v58
	v_fmamk_f32 v58, v56, 0x3f6eb680, v34
	v_fma_f32 v34, 0x3f6eb680, v56, -v34
	v_add_f32_e32 v18, v18, v59
	v_add_f32_e32 v35, v38, v35
	v_fmamk_f32 v38, v56, 0xbf1a4643, v40
	v_mul_f32_e32 v59, 0xbf4c4adb, v39
	v_fma_f32 v40, 0xbf1a4643, v56, -v40
	v_add_f32_e32 v24, v24, v34
	v_mul_f32_e32 v34, 0x3f763a35, v39
	v_add_f32_e32 v36, v36, v65
	v_add_f32_e32 v16, v16, v38
	v_fmamk_f32 v38, v37, 0xbf1a4643, v59
	v_add_f32_e32 v10, v10, v40
	v_fma_f32 v40, 0xbf1a4643, v37, -v59
	v_mul_f32_e32 v56, 0xbeb8f4ab, v39
	v_fmamk_f32 v59, v37, 0xbe8c1d8e, v34
	v_fma_f32 v34, 0xbe8c1d8e, v37, -v34
	v_add_f32_e32 v36, v36, v61
	v_add_f32_e32 v28, v38, v28
	;; [unrolled: 1-line block ×3, first 2 shown]
	v_fmamk_f32 v38, v37, 0x3f6eb680, v56
	v_fma_f32 v40, 0x3f6eb680, v37, -v56
	v_add_f32_e32 v30, v34, v30
	v_add_f32_e32 v34, v84, v55
	v_mul_f32_e32 v42, 0xbf1a4643, v21
	v_add_f32_e32 v20, v38, v20
	v_mul_f32_e32 v38, 0xbf2c7751, v39
	v_add_f32_e32 v36, v40, v36
	v_add_f32_e32 v40, v85, v41
	;; [unrolled: 1-line block ×3, first 2 shown]
	v_mul_f32_e32 v34, 0xbe3c28d5, v39
	v_fmamk_f32 v41, v37, 0x3f3d2fb0, v38
	v_fma_f32 v38, 0x3f3d2fb0, v37, -v38
	v_add_f32_e32 v26, v40, v26
	v_mul_f32_e32 v39, 0x3f65296c, v39
	v_fmamk_f32 v40, v37, 0xbf7ba420, v34
	v_fma_f32 v34, 0xbf7ba420, v37, -v34
	v_add_f32_e32 v18, v41, v18
	v_add_f32_e32 v35, v38, v35
	v_fmamk_f32 v38, v37, 0x3ee437d1, v39
	v_mul_f32_e32 v41, 0xbf06c442, v27
	v_fma_f32 v37, 0x3ee437d1, v37, -v39
	v_add_f32_e32 v24, v34, v24
	v_mul_f32_e32 v34, 0x3f65296c, v27
	v_add_f32_e32 v16, v38, v16
	v_fmamk_f32 v38, v21, 0xbf59a7d5, v41
	v_add_f32_e32 v10, v37, v10
	v_mul_f32_e32 v37, 0xbf7ee86f, v27
	v_fma_f32 v39, 0xbf59a7d5, v21, -v41
	v_fmamk_f32 v41, v21, 0x3ee437d1, v34
	v_fma_f32 v34, 0x3ee437d1, v21, -v34
	v_mul_f32_e32 v86, 0x3f6eb680, v21
	v_add_f32_e32 v28, v38, v28
	v_fmamk_f32 v38, v21, 0x3dbcf732, v37
	v_fma_f32 v37, 0x3dbcf732, v21, -v37
	v_add_f32_e32 v30, v34, v30
	v_add_f32_e32 v33, v42, v33
	v_mul_f32_e32 v34, 0xbe3c28d5, v27
	v_add_f32_e32 v12, v12, v14
	v_add_f32_e32 v14, v94, v91
	;; [unrolled: 1-line block ×5, first 2 shown]
	v_mul_f32_e32 v37, 0x3f2c7751, v27
	v_add_f32_e32 v32, v33, v32
	v_fmamk_f32 v33, v21, 0xbf7ba420, v34
	v_fma_f32 v34, 0xbf7ba420, v21, -v34
	v_mul_f32_e32 v27, 0xbf763a35, v27
	v_add_f32_e32 v14, v14, v73
	v_add_f32_e32 v67, v71, v67
	;; [unrolled: 1-line block ×3, first 2 shown]
	v_fmamk_f32 v31, v21, 0x3f3d2fb0, v37
	v_add_f32_e32 v18, v33, v18
	v_add_f32_e32 v33, v34, v35
	v_fma_f32 v34, 0x3f3d2fb0, v21, -v37
	v_fmamk_f32 v35, v21, 0xbe8c1d8e, v27
	v_mul_f32_e32 v37, 0xbe3c28d5, v9
	v_fma_f32 v21, 0xbe8c1d8e, v21, -v27
	v_mul_f32_e32 v27, 0x3eb8f4ab, v9
	v_add_f32_e32 v14, v14, v68
	v_mul_f32_e32 v87, 0x3f3d2fb0, v13
	v_add_f32_e32 v63, v67, v63
	v_add_f32_e32 v22, v39, v22
	;; [unrolled: 1-line block ×4, first 2 shown]
	v_fmamk_f32 v34, v13, 0xbf7ba420, v37
	v_add_f32_e32 v10, v21, v10
	v_fma_f32 v21, 0xbf7ba420, v13, -v37
	v_fmamk_f32 v35, v13, 0x3f6eb680, v27
	v_mul_f32_e32 v37, 0xbf06c442, v9
	v_fma_f32 v27, 0x3f6eb680, v13, -v27
	v_add_f32_e32 v14, v14, v64
	v_mul_f32_e32 v88, 0xbf1a4643, v13
	v_add_f32_e32 v58, v63, v58
	v_add_f32_e32 v20, v38, v20
	;; [unrolled: 1-line block ×4, first 2 shown]
	v_fmamk_f32 v22, v13, 0xbf59a7d5, v37
	v_fma_f32 v34, 0xbf59a7d5, v13, -v37
	v_add_f32_e32 v27, v27, v30
	v_add_f32_e32 v29, v87, v29
	v_mul_f32_e32 v30, 0x3f65296c, v9
	v_add_f32_e32 v14, v59, v14
	v_add_f32_e32 v40, v40, v58
	;; [unrolled: 1-line block ×6, first 2 shown]
	v_fmamk_f32 v32, v13, 0x3ee437d1, v30
	v_fma_f32 v30, 0x3ee437d1, v13, -v30
	v_mul_f32_e32 v34, 0xbf763a35, v9
	v_mul_f32_e32 v9, 0x3f7ee86f, v9
	v_add_f32_e32 v14, v41, v14
	v_add_f32_e32 v31, v31, v40
	;; [unrolled: 1-line block ×4, first 2 shown]
	v_fmamk_f32 v30, v13, 0xbe8c1d8e, v34
	v_fmamk_f32 v33, v13, 0x3dbcf732, v9
	v_fma_f32 v9, 0x3dbcf732, v13, -v9
	v_add_f32_e32 v18, v32, v18
	v_fma_f32 v32, 0xbe8c1d8e, v13, -v34
	v_lshl_add_u32 v13, v3, 6, v4
	v_add_f32_e32 v14, v35, v14
	v_add_f32_e32 v30, v30, v31
	;; [unrolled: 1-line block ×5, first 2 shown]
	ds_write2_b32 v13, v12, v28 offset1:1
	ds_write2_b32 v13, v14, v20 offset0:2 offset1:3
	ds_write2_b32 v13, v29, v25 offset0:4 offset1:5
	;; [unrolled: 1-line block ×7, first 2 shown]
	ds_write_b32 v13, v21 offset:64
.LBB0_15:
	s_or_b32 exec_lo, exec_lo, s1
	v_and_b32_e32 v9, 0xff, v3
	v_add_nc_u32_e32 v42, 0x77, v3
	v_add_nc_u32_e32 v14, 0x1dc, v3
	;; [unrolled: 1-line block ×4, first 2 shown]
	v_mul_lo_u16 v58, 0xf1, v9
	v_mov_b32_e32 v9, 0xf0f1
	v_add_nc_u32_e32 v16, 0x253, v3
	v_and_b32_e32 v10, 0xff, v42
	v_mov_b32_e32 v20, 3
	v_lshrrev_b16 v18, 12, v58
	v_mul_u32_u24_sdwa v25, v14, v9 dst_sel:DWORD dst_unused:UNUSED_PAD src0_sel:WORD_0 src1_sel:DWORD
	v_mul_u32_u24_sdwa v22, v12, v9 dst_sel:DWORD dst_unused:UNUSED_PAD src0_sel:WORD_0 src1_sel:DWORD
	v_mul_u32_u24_sdwa v24, v13, v9 dst_sel:DWORD dst_unused:UNUSED_PAD src0_sel:WORD_0 src1_sel:DWORD
	v_mul_u32_u24_sdwa v9, v16, v9 dst_sel:DWORD dst_unused:UNUSED_PAD src0_sel:WORD_0 src1_sel:DWORD
	v_mul_lo_u16 v59, 0xf1, v10
	v_lshrrev_b32_e32 v25, 20, v25
	v_mul_lo_u16 v21, v18, 17
	v_lshrrev_b32_e32 v22, 20, v22
	v_lshrrev_b32_e32 v61, 20, v9
	v_lshrrev_b16 v62, 12, v59
	v_lshrrev_b32_e32 v24, 20, v24
	v_mul_lo_u16 v26, v25, 17
	v_sub_nc_u16 v21, v3, v21
	v_mul_lo_u16 v27, v61, 17
	v_mul_lo_u16 v28, v62, 17
	;; [unrolled: 1-line block ×4, first 2 shown]
	v_sub_nc_u16 v14, v14, v26
	v_sub_nc_u16 v63, v16, v27
	v_lshlrev_b32_sdwa v9, v20, v21 dst_sel:DWORD dst_unused:UNUSED_PAD src0_sel:DWORD src1_sel:BYTE_0
	v_sub_nc_u16 v64, v42, v28
	v_sub_nc_u16 v65, v12, v29
	;; [unrolled: 1-line block ×3, first 2 shown]
	v_lshlrev_b32_sdwa v12, v20, v14 dst_sel:DWORD dst_unused:UNUSED_PAD src0_sel:DWORD src1_sel:WORD_0
	v_lshlrev_b32_sdwa v13, v20, v63 dst_sel:DWORD dst_unused:UNUSED_PAD src0_sel:DWORD src1_sel:WORD_0
	s_load_dwordx2 s[2:3], s[2:3], 0x0
	s_waitcnt lgkmcnt(0)
	s_barrier
	buffer_gl0_inv
	global_load_dwordx2 v[9:10], v9, s[12:13]
	v_lshlrev_b32_sdwa v16, v20, v64 dst_sel:DWORD dst_unused:UNUSED_PAD src0_sel:DWORD src1_sel:BYTE_0
	v_lshlrev_b32_sdwa v32, v20, v65 dst_sel:DWORD dst_unused:UNUSED_PAD src0_sel:DWORD src1_sel:WORD_0
	v_lshlrev_b32_sdwa v20, v20, v66 dst_sel:DWORD dst_unused:UNUSED_PAD src0_sel:DWORD src1_sel:WORD_0
	s_clause 0x4
	global_load_dwordx2 v[26:27], v12, s[12:13]
	global_load_dwordx2 v[28:29], v13, s[12:13]
	;; [unrolled: 1-line block ×5, first 2 shown]
	ds_read2_b32 v[12:13], v4 offset1:119
	ds_read2_b32 v[38:39], v15 offset0:74 offset1:193
	ds_read2_b32 v[16:17], v17 offset0:110 offset1:229
	;; [unrolled: 1-line block ×5, first 2 shown]
	v_mov_b32_e32 v7, 2
	v_mov_b32_e32 v15, 0x88
	v_mul_u32_u24_e32 v19, 0x88, v22
	v_mul_u32_u24_e32 v22, 0x88, v25
	;; [unrolled: 1-line block ×3, first 2 shown]
	v_lshlrev_b32_sdwa v14, v7, v14 dst_sel:DWORD dst_unused:UNUSED_PAD src0_sel:DWORD src1_sel:WORD_0
	v_mul_u32_u24_sdwa v18, v18, v15 dst_sel:DWORD dst_unused:UNUSED_PAD src0_sel:WORD_0 src1_sel:DWORD
	v_lshlrev_b32_sdwa v21, v7, v21 dst_sel:DWORD dst_unused:UNUSED_PAD src0_sel:DWORD src1_sel:BYTE_0
	v_lshlrev_b32_sdwa v25, v7, v65 dst_sel:DWORD dst_unused:UNUSED_PAD src0_sel:DWORD src1_sel:WORD_0
	v_lshlrev_b32_sdwa v65, v7, v66 dst_sel:DWORD dst_unused:UNUSED_PAD src0_sel:DWORD src1_sel:WORD_0
	v_mul_u32_u24_e32 v24, 0x88, v61
	v_mul_u32_u24_sdwa v15, v62, v15 dst_sel:DWORD dst_unused:UNUSED_PAD src0_sel:WORD_0 src1_sel:DWORD
	v_lshlrev_b32_sdwa v66, v7, v63 dst_sel:DWORD dst_unused:UNUSED_PAD src0_sel:DWORD src1_sel:WORD_0
	v_lshlrev_b32_sdwa v7, v7, v64 dst_sel:DWORD dst_unused:UNUSED_PAD src0_sel:DWORD src1_sel:BYTE_0
	v_add3_u32 v64, 0, v22, v14
	v_add3_u32 v61, 0, v18, v21
	;; [unrolled: 1-line block ×6, first 2 shown]
	v_add_nc_u32_e32 v60, 0xc00, v4
	s_waitcnt vmcnt(0) lgkmcnt(0)
	s_barrier
	buffer_gl0_inv
	v_cmp_gt_u32_e64 s0, 0x55, v3
	v_mul_f32_e32 v14, v38, v10
	v_mul_f32_e32 v7, v55, v27
	;; [unrolled: 1-line block ×6, first 2 shown]
	v_fma_f32 v14, v47, v9, -v14
	v_fma_f32 v18, v48, v30, -v18
	;; [unrolled: 1-line block ×6, first 2 shown]
	v_sub_f32_e32 v22, v49, v14
	v_sub_f32_e32 v18, v50, v18
	;; [unrolled: 1-line block ×6, first 2 shown]
	v_fma_f32 v24, v49, 2.0, -v22
	v_fma_f32 v25, v50, 2.0, -v18
	;; [unrolled: 1-line block ×6, first 2 shown]
	ds_write2_b32 v61, v24, v22 offset1:17
	ds_write2_b32 v66, v25, v18 offset1:17
	;; [unrolled: 1-line block ×6, first 2 shown]
	s_waitcnt lgkmcnt(0)
	s_barrier
	buffer_gl0_inv
	ds_read2_b32 v[18:19], v4 offset1:204
	ds_read2_b32 v[24:25], v23 offset0:24 offset1:228
	ds_read2_b32 v[22:23], v60 offset0:48 offset1:252
	ds_read_b32 v49, v4 offset:4896
	s_and_saveexec_b32 s1, s0
	s_cbranch_execz .LBB0_17
; %bb.16:
	v_add_nc_u32_e32 v0, 0x180, v4
	v_add_nc_u32_e32 v7, 0x800, v4
	;; [unrolled: 1-line block ×3, first 2 shown]
	ds_read2_b32 v[14:15], v0 offset0:23 offset1:227
	ds_read2_b32 v[20:21], v7 offset0:15 offset1:219
	;; [unrolled: 1-line block ×3, first 2 shown]
	ds_read_b32 v0, v4 offset:5372
.LBB0_17:
	s_or_b32 exec_lo, exec_lo, s1
	v_mul_f32_e32 v10, v47, v10
	v_mul_f32_e32 v31, v48, v31
	;; [unrolled: 1-line block ×5, first 2 shown]
	v_fmac_f32_e32 v10, v38, v9
	v_mul_f32_e32 v9, v44, v29
	v_fmac_f32_e32 v31, v39, v30
	v_fmac_f32_e32 v33, v40, v32
	;; [unrolled: 1-line block ×3, first 2 shown]
	v_sub_f32_e32 v29, v12, v10
	v_fmac_f32_e32 v27, v55, v26
	v_fmac_f32_e32 v9, v56, v28
	v_sub_f32_e32 v28, v13, v31
	v_sub_f32_e32 v30, v16, v33
	v_fma_f32 v31, v12, 2.0, -v29
	v_sub_f32_e32 v12, v17, v35
	v_sub_f32_e32 v26, v36, v27
	;; [unrolled: 1-line block ×3, first 2 shown]
	v_fma_f32 v9, v13, 2.0, -v28
	v_fma_f32 v16, v16, 2.0, -v30
	;; [unrolled: 1-line block ×5, first 2 shown]
	s_waitcnt lgkmcnt(0)
	s_barrier
	buffer_gl0_inv
	ds_write2_b32 v61, v31, v29 offset1:17
	ds_write2_b32 v66, v9, v28 offset1:17
	;; [unrolled: 1-line block ×6, first 2 shown]
	v_add_nc_u32_e32 v9, 0x600, v4
	s_waitcnt lgkmcnt(0)
	s_barrier
	buffer_gl0_inv
	ds_read2_b32 v[16:17], v4 offset1:204
	ds_read2_b32 v[30:31], v9 offset0:24 offset1:228
	ds_read2_b32 v[28:29], v60 offset0:48 offset1:252
	ds_read_b32 v9, v4 offset:4896
	s_and_saveexec_b32 s1, s0
	s_cbranch_execz .LBB0_19
; %bb.18:
	v_add_nc_u32_e32 v10, 0x180, v4
	v_add_nc_u32_e32 v11, 0x800, v4
	;; [unrolled: 1-line block ×3, first 2 shown]
	ds_read2_b32 v[12:13], v10 offset0:23 offset1:227
	ds_read2_b32 v[26:27], v11 offset0:15 offset1:219
	;; [unrolled: 1-line block ×3, first 2 shown]
	ds_read_b32 v57, v4 offset:5372
.LBB0_19:
	s_or_b32 exec_lo, exec_lo, s1
	v_lshrrev_b16 v34, 13, v58
	v_mov_b32_e32 v35, 6
	v_mov_b32_e32 v46, 0x3b8
	;; [unrolled: 1-line block ×3, first 2 shown]
	v_mul_lo_u16 v32, v34, 34
	v_mul_u32_u24_sdwa v34, v34, v46 dst_sel:DWORD dst_unused:UNUSED_PAD src0_sel:WORD_0 src1_sel:DWORD
	v_sub_nc_u16 v36, v3, v32
	v_lshrrev_b16 v32, 13, v59
	v_mul_u32_u24_sdwa v33, v36, v35 dst_sel:DWORD dst_unused:UNUSED_PAD src0_sel:BYTE_0 src1_sel:DWORD
	v_mul_lo_u16 v37, v32, 34
	v_lshlrev_b32_e32 v38, 3, v33
	v_sub_nc_u16 v33, v42, v37
	s_clause 0x1
	global_load_dwordx4 v[51:54], v38, s[12:13] offset:136
	global_load_dwordx4 v[58:61], v38, s[12:13] offset:152
	v_mul_u32_u24_sdwa v35, v33, v35 dst_sel:DWORD dst_unused:UNUSED_PAD src0_sel:BYTE_0 src1_sel:DWORD
	v_lshlrev_b32_e32 v35, 3, v35
	s_clause 0x3
	global_load_dwordx4 v[62:65], v38, s[12:13] offset:168
	global_load_dwordx4 v[66:69], v35, s[12:13] offset:136
	;; [unrolled: 1-line block ×4, first 2 shown]
	v_lshlrev_b32_sdwa v35, v48, v36 dst_sel:DWORD dst_unused:UNUSED_PAD src0_sel:DWORD src1_sel:BYTE_0
	s_waitcnt vmcnt(0) lgkmcnt(0)
	s_barrier
	buffer_gl0_inv
	v_add3_u32 v34, 0, v34, v35
	v_mul_f32_e32 v55, v17, v52
	v_mul_f32_e32 v43, v19, v52
	;; [unrolled: 1-line block ×20, first 2 shown]
	v_fma_f32 v19, v19, v51, -v55
	v_fmac_f32_e32 v43, v17, v51
	v_fma_f32 v17, v24, v53, -v52
	v_fmac_f32_e32 v45, v28, v60
	;; [unrolled: 2-line block ×3, first 2 shown]
	v_fma_f32 v29, v49, v64, -v61
	v_mul_f32_e32 v38, v7, v73
	v_mul_f32_e32 v39, v8, v75
	v_fmac_f32_e32 v44, v30, v53
	v_fma_f32 v30, v25, v58, -v54
	v_fmac_f32_e32 v41, v31, v58
	v_fma_f32 v31, v22, v60, -v56
	v_fma_f32 v24, v7, v72, -v69
	;; [unrolled: 1-line block ×3, first 2 shown]
	v_add_f32_e32 v7, v19, v29
	v_add_f32_e32 v8, v17, v28
	v_fmac_f32_e32 v50, v9, v64
	v_fma_f32 v23, v15, v66, -v63
	v_fmac_f32_e32 v36, v13, v66
	v_fma_f32 v22, v20, v68, -v65
	v_fmac_f32_e32 v38, v10, v72
	v_add_f32_e32 v10, v30, v31
	v_sub_f32_e32 v13, v44, v47
	v_sub_f32_e32 v15, v45, v41
	v_add_f32_e32 v20, v8, v7
	v_sub_f32_e32 v9, v43, v50
	v_fmac_f32_e32 v37, v26, v68
	v_fmac_f32_e32 v35, v27, v70
	v_sub_f32_e32 v26, v8, v7
	v_sub_f32_e32 v7, v7, v10
	;; [unrolled: 1-line block ×3, first 2 shown]
	v_add_f32_e32 v27, v15, v13
	v_sub_f32_e32 v49, v15, v13
	v_add_f32_e32 v10, v10, v20
	v_sub_f32_e32 v13, v13, v9
	v_sub_f32_e32 v15, v9, v15
	v_add_f32_e32 v9, v27, v9
	v_mul_f32_e32 v7, 0x3f4a47b2, v7
	v_mul_f32_e32 v27, 0xbf08b237, v49
	v_add_f32_e32 v18, v18, v10
	v_mul_f32_e32 v20, 0x3d64c772, v8
	v_mul_f32_e32 v49, 0x3f5ff5aa, v13
	v_fmamk_f32 v8, v8, 0x3d64c772, v7
	v_fmamk_f32 v51, v15, 0x3eae86e6, v27
	v_fmamk_f32 v10, v10, 0xbf955555, v18
	v_fma_f32 v20, 0x3f3bfb3b, v26, -v20
	v_fma_f32 v13, 0x3f5ff5aa, v13, -v27
	;; [unrolled: 1-line block ×4, first 2 shown]
	v_mul_f32_e32 v73, v57, v77
	v_mul_f32_e32 v40, v0, v77
	v_fmac_f32_e32 v51, 0x3ee1c552, v9
	v_add_f32_e32 v8, v8, v10
	v_fmac_f32_e32 v13, 0x3ee1c552, v9
	v_fmac_f32_e32 v15, 0x3ee1c552, v9
	v_add_f32_e32 v7, v7, v10
	v_add_f32_e32 v9, v20, v10
	v_fma_f32 v21, v21, v70, -v67
	v_fmac_f32_e32 v39, v11, v74
	v_fma_f32 v0, v0, v76, -v73
	v_add_f32_e32 v10, v51, v8
	v_fmac_f32_e32 v40, v57, v76
	v_add_f32_e32 v11, v15, v7
	v_sub_f32_e32 v20, v9, v13
	v_add_f32_e32 v9, v13, v9
	v_sub_f32_e32 v7, v7, v15
	v_sub_f32_e32 v8, v8, v51
	ds_write2_b32 v34, v18, v10 offset1:34
	ds_write2_b32 v34, v11, v20 offset0:68 offset1:102
	ds_write2_b32 v34, v9, v7 offset0:136 offset1:170
	ds_write_b32 v34, v8 offset:816
	s_and_saveexec_b32 s1, s0
	s_cbranch_execz .LBB0_21
; %bb.20:
	v_add_f32_e32 v7, v23, v0
	v_add_f32_e32 v8, v22, v25
	;; [unrolled: 1-line block ×3, first 2 shown]
	v_sub_f32_e32 v10, v36, v40
	v_sub_f32_e32 v11, v38, v35
	;; [unrolled: 1-line block ×3, first 2 shown]
	v_add_f32_e32 v13, v8, v7
	v_sub_f32_e32 v18, v7, v9
	v_sub_f32_e32 v20, v9, v8
	;; [unrolled: 1-line block ×4, first 2 shown]
	v_add_f32_e32 v9, v9, v13
	v_sub_f32_e32 v13, v11, v15
	v_add_f32_e32 v11, v11, v15
	v_sub_f32_e32 v15, v15, v10
	v_mul_f32_e32 v8, 0x3f4a47b2, v18
	v_add_f32_e32 v14, v14, v9
	v_mul_f32_e32 v18, 0x3d64c772, v20
	v_mul_f32_e32 v13, 0xbf08b237, v13
	;; [unrolled: 1-line block ×3, first 2 shown]
	v_fmamk_f32 v20, v20, 0x3d64c772, v8
	v_fmamk_f32 v9, v9, 0xbf955555, v14
	v_add_f32_e32 v10, v11, v10
	v_fmamk_f32 v11, v26, 0x3eae86e6, v13
	v_fma_f32 v8, 0xbf3bfb3b, v7, -v8
	v_fma_f32 v26, 0xbeae86e6, v26, -v27
	;; [unrolled: 1-line block ×4, first 2 shown]
	v_add_f32_e32 v20, v20, v9
	v_fmac_f32_e32 v11, 0x3ee1c552, v10
	v_add_f32_e32 v8, v8, v9
	v_fmac_f32_e32 v26, 0x3ee1c552, v10
	v_fmac_f32_e32 v13, 0x3ee1c552, v10
	v_add_f32_e32 v7, v7, v9
	v_mul_u32_u24_sdwa v9, v32, v46 dst_sel:DWORD dst_unused:UNUSED_PAD src0_sel:WORD_0 src1_sel:DWORD
	v_lshlrev_b32_sdwa v10, v48, v33 dst_sel:DWORD dst_unused:UNUSED_PAD src0_sel:DWORD src1_sel:BYTE_0
	v_add_f32_e32 v27, v11, v20
	v_sub_f32_e32 v15, v8, v26
	v_sub_f32_e32 v18, v7, v13
	v_add_f32_e32 v8, v26, v8
	v_add3_u32 v9, 0, v9, v10
	v_add_f32_e32 v7, v13, v7
	v_sub_f32_e32 v10, v20, v11
	ds_write2_b32 v9, v14, v27 offset1:34
	ds_write2_b32 v9, v8, v18 offset0:68 offset1:102
	ds_write2_b32 v9, v7, v15 offset0:136 offset1:170
	ds_write_b32 v9, v10 offset:816
.LBB0_21:
	s_or_b32 exec_lo, exec_lo, s1
	v_add_f32_e32 v7, v43, v50
	v_add_f32_e32 v8, v44, v47
	;; [unrolled: 1-line block ×3, first 2 shown]
	v_sub_f32_e32 v11, v17, v28
	v_sub_f32_e32 v13, v31, v30
	;; [unrolled: 1-line block ×3, first 2 shown]
	v_add_f32_e32 v14, v8, v7
	v_sub_f32_e32 v15, v8, v7
	v_sub_f32_e32 v7, v7, v10
	;; [unrolled: 1-line block ×3, first 2 shown]
	v_add_f32_e32 v17, v13, v11
	v_add_f32_e32 v10, v10, v14
	v_sub_f32_e32 v14, v13, v11
	v_sub_f32_e32 v13, v9, v13
	;; [unrolled: 1-line block ×3, first 2 shown]
	v_add_f32_e32 v26, v17, v9
	v_add_f32_e32 v27, v16, v10
	v_mul_f32_e32 v9, 0x3d64c772, v8
	v_mul_f32_e32 v7, 0x3f4a47b2, v7
	;; [unrolled: 1-line block ×4, first 2 shown]
	v_fmamk_f32 v28, v10, 0xbf955555, v27
	v_fma_f32 v9, 0x3f3bfb3b, v15, -v9
	v_fmamk_f32 v8, v8, 0x3d64c772, v7
	v_fmamk_f32 v30, v13, 0x3eae86e6, v14
	v_fma_f32 v31, 0xbeae86e6, v13, -v16
	v_add_nc_u32_e32 v13, 0x600, v4
	v_add_f32_e32 v43, v9, v28
	v_add_nc_u32_e32 v9, 0x200, v4
	v_fma_f32 v11, 0x3f5ff5aa, v11, -v14
	v_add_nc_u32_e32 v14, 0xa00, v4
	v_fma_f32 v29, 0xbf3bfb3b, v15, -v7
	v_add_nc_u32_e32 v15, 0xe00, v4
	v_add_nc_u32_e32 v16, 0x1200, v4
	v_add_f32_e32 v41, v8, v28
	s_waitcnt lgkmcnt(0)
	s_barrier
	buffer_gl0_inv
	ds_read2_b32 v[7:8], v4 offset1:119
	ds_read2_b32 v[9:10], v9 offset0:110 offset1:229
	ds_read2_b32 v[17:18], v13 offset0:92 offset1:211
	ds_read2_b32 v[13:14], v14 offset0:74 offset1:193
	ds_read2_b32 v[19:20], v15 offset0:56 offset1:175
	ds_read2_b32 v[15:16], v16 offset0:38 offset1:157
	v_fmac_f32_e32 v30, 0x3ee1c552, v26
	v_add_f32_e32 v28, v29, v28
	v_fmac_f32_e32 v31, 0x3ee1c552, v26
	v_fmac_f32_e32 v11, 0x3ee1c552, v26
	s_waitcnt lgkmcnt(0)
	v_sub_f32_e32 v26, v41, v30
	v_add_f32_e32 v30, v30, v41
	v_sub_f32_e32 v29, v28, v31
	v_add_f32_e32 v44, v11, v43
	;; [unrolled: 2-line block ×3, first 2 shown]
	s_barrier
	buffer_gl0_inv
	ds_write2_b32 v34, v27, v26 offset1:34
	ds_write2_b32 v34, v29, v44 offset0:68 offset1:102
	ds_write2_b32 v34, v11, v28 offset0:136 offset1:170
	ds_write_b32 v34, v30 offset:816
	s_and_saveexec_b32 s1, s0
	s_cbranch_execz .LBB0_23
; %bb.22:
	v_add_f32_e32 v11, v36, v40
	v_add_f32_e32 v26, v37, v39
	v_sub_f32_e32 v0, v23, v0
	v_add_f32_e32 v23, v35, v38
	v_sub_f32_e32 v22, v22, v25
	v_sub_f32_e32 v21, v24, v21
	v_add_f32_e32 v24, v26, v11
	v_sub_f32_e32 v25, v26, v11
	v_sub_f32_e32 v11, v11, v23
	;; [unrolled: 1-line block ×3, first 2 shown]
	v_add_f32_e32 v27, v21, v22
	v_add_f32_e32 v23, v23, v24
	v_sub_f32_e32 v24, v21, v22
	v_sub_f32_e32 v21, v0, v21
	;; [unrolled: 1-line block ×3, first 2 shown]
	v_add_f32_e32 v0, v27, v0
	v_add_f32_e32 v12, v12, v23
	v_mul_f32_e32 v11, 0x3f4a47b2, v11
	v_mul_f32_e32 v27, 0x3d64c772, v26
	;; [unrolled: 1-line block ×4, first 2 shown]
	v_fmamk_f32 v23, v23, 0xbf955555, v12
	v_fmamk_f32 v26, v26, 0x3d64c772, v11
	v_fma_f32 v27, 0x3f3bfb3b, v25, -v27
	v_fma_f32 v11, 0xbf3bfb3b, v25, -v11
	v_fmamk_f32 v25, v21, 0x3eae86e6, v24
	v_fma_f32 v22, 0x3f5ff5aa, v22, -v24
	v_fma_f32 v21, 0xbeae86e6, v21, -v28
	v_add_f32_e32 v24, v26, v23
	v_add_f32_e32 v26, v27, v23
	;; [unrolled: 1-line block ×3, first 2 shown]
	v_mov_b32_e32 v23, 0x3b8
	v_mov_b32_e32 v27, 2
	v_fmac_f32_e32 v25, 0x3ee1c552, v0
	v_fmac_f32_e32 v22, 0x3ee1c552, v0
	;; [unrolled: 1-line block ×3, first 2 shown]
	v_mul_u32_u24_sdwa v0, v32, v23 dst_sel:DWORD dst_unused:UNUSED_PAD src0_sel:WORD_0 src1_sel:DWORD
	v_lshlrev_b32_sdwa v23, v27, v33 dst_sel:DWORD dst_unused:UNUSED_PAD src0_sel:DWORD src1_sel:BYTE_0
	v_sub_f32_e32 v27, v24, v25
	v_add_f32_e32 v29, v22, v26
	v_sub_f32_e32 v28, v11, v21
	v_sub_f32_e32 v22, v26, v22
	v_add3_u32 v0, 0, v0, v23
	v_add_f32_e32 v11, v21, v11
	v_add_f32_e32 v21, v25, v24
	ds_write2_b32 v0, v12, v27 offset1:34
	ds_write2_b32 v0, v28, v29 offset0:68 offset1:102
	ds_write2_b32 v0, v22, v11 offset0:136 offset1:170
	ds_write_b32 v0, v21 offset:816
.LBB0_23:
	s_or_b32 exec_lo, exec_lo, s1
	s_waitcnt lgkmcnt(0)
	s_barrier
	buffer_gl0_inv
	s_and_saveexec_b32 s0, vcc_lo
	s_cbranch_execz .LBB0_25
; %bb.24:
	v_mul_u32_u24_e32 v0, 5, v42
	v_mul_u32_u24_e32 v11, 5, v3
	v_mul_lo_u32 v41, s2, v6
	v_add_nc_u32_e32 v43, 0x600, v4
	v_add_nc_u32_e32 v45, 0x200, v4
	v_lshlrev_b32_e32 v0, 3, v0
	v_lshlrev_b32_e32 v37, 3, v11
	v_add_nc_u32_e32 v44, 0xe00, v4
	v_add_nc_u32_e32 v47, 0xa00, v4
	;; [unrolled: 1-line block ×3, first 2 shown]
	s_clause 0x5
	global_load_dwordx4 v[21:24], v0, s[12:13] offset:1768
	global_load_dwordx4 v[25:28], v0, s[12:13] offset:1784
	global_load_dwordx2 v[11:12], v0, s[12:13] offset:1800
	global_load_dwordx4 v[29:32], v37, s[12:13] offset:1768
	global_load_dwordx4 v[33:36], v37, s[12:13] offset:1784
	global_load_dwordx2 v[37:38], v37, s[12:13] offset:1800
	v_mul_lo_u32 v0, s3, v5
	v_mad_u64_u32 v[5:6], null, s2, v5, 0
	ds_read2_b32 v[39:40], v4 offset1:119
	v_mov_b32_e32 v4, 0
	v_lshlrev_b64 v[51:52], 3, v[3:4]
	v_add3_u32 v6, v6, v41, v0
	v_lshlrev_b64 v[0:1], 3, v[1:2]
	v_mul_hi_u32 v2, 0x44d72045, v42
	ds_read2_b32 v[41:42], v43 offset0:92 offset1:211
	ds_read2_b32 v[43:44], v44 offset0:56 offset1:175
	;; [unrolled: 1-line block ×5, first 2 shown]
	v_lshlrev_b64 v[5:6], 3, v[5:6]
	v_lshrrev_b32_e32 v2, 6, v2
	v_add_co_u32 v3, vcc_lo, s10, v5
	v_add_co_ci_u32_e32 v5, vcc_lo, s11, v6, vcc_lo
	v_add_co_u32 v0, vcc_lo, v3, v0
	v_add_co_ci_u32_e32 v1, vcc_lo, v5, v1, vcc_lo
	v_mul_u32_u24_e32 v3, 0x4a6, v2
	v_add_co_u32 v0, vcc_lo, v0, v51
	v_add_co_ci_u32_e32 v1, vcc_lo, v1, v52, vcc_lo
	v_lshlrev_b64 v[2:3], 3, v[3:4]
	v_add_co_u32 v4, vcc_lo, 0x800, v0
	v_add_co_ci_u32_e32 v5, vcc_lo, 0, v1, vcc_lo
	v_add_co_u32 v51, vcc_lo, 0x1000, v0
	v_add_co_ci_u32_e32 v52, vcc_lo, 0, v1, vcc_lo
	;; [unrolled: 2-line block ×10, first 2 shown]
	s_waitcnt vmcnt(3) lgkmcnt(0)
	v_mul_f32_e32 v70, v50, v12
	v_mul_f32_e32 v6, v42, v24
	;; [unrolled: 1-line block ×10, first 2 shown]
	s_waitcnt vmcnt(1)
	v_mul_f32_e32 v74, v47, v34
	s_waitcnt vmcnt(0)
	v_mul_f32_e32 v75, v49, v38
	v_mul_f32_e32 v34, v13, v34
	;; [unrolled: 1-line block ×9, first 2 shown]
	v_fma_f32 v6, v18, v23, -v6
	v_fma_f32 v18, v20, v27, -v67
	v_fmac_f32_e32 v24, v23, v42
	v_fmac_f32_e32 v28, v27, v44
	v_fma_f32 v10, v10, v21, -v68
	v_fma_f32 v14, v14, v25, -v69
	;; [unrolled: 1-line block ×3, first 2 shown]
	v_fmac_f32_e32 v26, v25, v48
	v_fmac_f32_e32 v12, v11, v50
	;; [unrolled: 1-line block ×3, first 2 shown]
	v_fma_f32 v13, v13, v33, -v74
	v_fma_f32 v15, v15, v37, -v75
	v_fmac_f32_e32 v34, v33, v47
	v_fmac_f32_e32 v38, v37, v49
	v_fma_f32 v11, v17, v31, -v71
	v_fma_f32 v17, v19, v35, -v72
	v_fmac_f32_e32 v32, v31, v41
	v_fmac_f32_e32 v36, v35, v43
	v_fma_f32 v9, v9, v29, -v73
	v_fmac_f32_e32 v30, v29, v45
	v_sub_f32_e32 v19, v6, v18
	v_add_f32_e32 v20, v24, v28
	v_add_f32_e32 v21, v14, v16
	v_sub_f32_e32 v23, v26, v12
	v_sub_f32_e32 v25, v14, v16
	v_add_f32_e32 v27, v26, v12
	v_add_f32_e32 v26, v22, v26
	;; [unrolled: 1-line block ×8, first 2 shown]
	v_sub_f32_e32 v24, v24, v28
	v_add_f32_e32 v35, v32, v36
	v_sub_f32_e32 v41, v34, v38
	v_sub_f32_e32 v42, v13, v15
	v_add_f32_e32 v34, v30, v34
	v_add_f32_e32 v45, v11, v17
	v_fma_f32 v20, -0.5, v20, v40
	v_fma_f32 v21, -0.5, v21, v10
	;; [unrolled: 1-line block ×3, first 2 shown]
	v_add_f32_e32 v12, v26, v12
	v_fma_f32 v26, -0.5, v31, v8
	v_add_f32_e32 v8, v6, v18
	v_add_f32_e32 v14, v14, v16
	v_fma_f32 v18, -0.5, v37, v9
	v_fma_f32 v27, -0.5, v43, v30
	v_add_f32_e32 v44, v32, v39
	v_sub_f32_e32 v33, v11, v17
	v_add_f32_e32 v11, v7, v11
	v_add_f32_e32 v13, v9, v13
	v_sub_f32_e32 v32, v32, v36
	v_add_f32_e32 v10, v28, v29
	v_fma_f32 v16, -0.5, v35, v39
	v_add_f32_e32 v29, v34, v38
	v_fma_f32 v30, -0.5, v45, v7
	v_fmamk_f32 v31, v19, 0x3f5db3d7, v20
	v_fmamk_f32 v34, v23, 0xbf5db3d7, v21
	v_fmac_f32_e32 v20, 0xbf5db3d7, v19
	v_fmamk_f32 v19, v24, 0xbf5db3d7, v26
	v_fmac_f32_e32 v26, 0x3f5db3d7, v24
	v_sub_f32_e32 v6, v8, v14
	v_add_f32_e32 v8, v8, v14
	v_fmamk_f32 v14, v41, 0xbf5db3d7, v18
	v_fmamk_f32 v24, v42, 0x3f5db3d7, v27
	v_fmac_f32_e32 v27, 0xbf5db3d7, v42
	v_fmac_f32_e32 v18, 0x3f5db3d7, v41
	v_add_f32_e32 v28, v36, v44
	v_add_f32_e32 v17, v11, v17
	v_add_f32_e32 v15, v13, v15
	v_fmac_f32_e32 v21, 0x3f5db3d7, v23
	v_fmamk_f32 v35, v25, 0x3f5db3d7, v22
	v_fmac_f32_e32 v22, 0xbf5db3d7, v25
	v_fmamk_f32 v23, v33, 0x3f5db3d7, v16
	;; [unrolled: 2-line block ×3, first 2 shown]
	v_fmac_f32_e32 v30, 0x3f5db3d7, v32
	v_mul_f32_e32 v25, -0.5, v34
	v_mul_f32_e32 v32, 0xbf5db3d7, v18
	v_mul_f32_e32 v37, 0x3f5db3d7, v27
	v_sub_f32_e32 v11, v28, v29
	v_add_f32_e32 v13, v28, v29
	v_mul_f32_e32 v29, -0.5, v24
	v_mul_f32_e32 v36, -0.5, v14
	v_sub_f32_e32 v7, v10, v12
	v_add_f32_e32 v9, v10, v12
	v_sub_f32_e32 v10, v17, v15
	v_add_f32_e32 v12, v17, v15
	v_mul_f32_e32 v17, 0xbf5db3d7, v21
	v_mul_f32_e32 v15, -0.5, v35
	v_mul_f32_e32 v28, 0x3f5db3d7, v22
	v_fmac_f32_e32 v25, 0x3f5db3d7, v35
	v_fmac_f32_e32 v32, 0.5, v27
	v_fmac_f32_e32 v37, 0.5, v18
	v_fmac_f32_e32 v29, 0xbf5db3d7, v14
	v_fmac_f32_e32 v36, 0x3f5db3d7, v24
	v_fmac_f32_e32 v17, 0.5, v22
	global_store_dwordx2 v[0:1], v[12:13], off
	global_store_dwordx2 v[51:52], v[10:11], off offset:1616
	v_fmac_f32_e32 v15, 0xbf5db3d7, v34
	v_fmac_f32_e32 v28, 0.5, v21
	v_sub_f32_e32 v10, v19, v25
	v_add_f32_e32 v14, v19, v25
	v_add_f32_e32 v25, v16, v32
	;; [unrolled: 1-line block ×3, first 2 shown]
	v_sub_f32_e32 v19, v23, v29
	v_add_f32_e32 v23, v23, v29
	v_add_f32_e32 v22, v33, v36
	v_sub_f32_e32 v13, v20, v17
	v_add_f32_e32 v17, v20, v17
	v_sub_f32_e32 v21, v16, v32
	v_sub_f32_e32 v20, v30, v37
	;; [unrolled: 1-line block ×5, first 2 shown]
	v_add_f32_e32 v15, v31, v15
	v_add_f32_e32 v16, v26, v28
	global_store_dwordx2 v[0:1], v[24:25], off offset:1904
	global_store_dwordx2 v[4:5], v[22:23], off offset:1760
	;; [unrolled: 1-line block ×10, first 2 shown]
.LBB0_25:
	s_endpgm
	.section	.rodata,"a",@progbits
	.p2align	6, 0x0
	.amdhsa_kernel fft_rtc_fwd_len1428_factors_17_2_7_6_wgs_119_tpt_119_halfLds_sp_op_CI_CI_unitstride_sbrr_dirReg
		.amdhsa_group_segment_fixed_size 0
		.amdhsa_private_segment_fixed_size 0
		.amdhsa_kernarg_size 104
		.amdhsa_user_sgpr_count 6
		.amdhsa_user_sgpr_private_segment_buffer 1
		.amdhsa_user_sgpr_dispatch_ptr 0
		.amdhsa_user_sgpr_queue_ptr 0
		.amdhsa_user_sgpr_kernarg_segment_ptr 1
		.amdhsa_user_sgpr_dispatch_id 0
		.amdhsa_user_sgpr_flat_scratch_init 0
		.amdhsa_user_sgpr_private_segment_size 0
		.amdhsa_wavefront_size32 1
		.amdhsa_uses_dynamic_stack 0
		.amdhsa_system_sgpr_private_segment_wavefront_offset 0
		.amdhsa_system_sgpr_workgroup_id_x 1
		.amdhsa_system_sgpr_workgroup_id_y 0
		.amdhsa_system_sgpr_workgroup_id_z 0
		.amdhsa_system_sgpr_workgroup_info 0
		.amdhsa_system_vgpr_workitem_id 0
		.amdhsa_next_free_vgpr 96
		.amdhsa_next_free_sgpr 27
		.amdhsa_reserve_vcc 1
		.amdhsa_reserve_flat_scratch 0
		.amdhsa_float_round_mode_32 0
		.amdhsa_float_round_mode_16_64 0
		.amdhsa_float_denorm_mode_32 3
		.amdhsa_float_denorm_mode_16_64 3
		.amdhsa_dx10_clamp 1
		.amdhsa_ieee_mode 1
		.amdhsa_fp16_overflow 0
		.amdhsa_workgroup_processor_mode 1
		.amdhsa_memory_ordered 1
		.amdhsa_forward_progress 0
		.amdhsa_shared_vgpr_count 0
		.amdhsa_exception_fp_ieee_invalid_op 0
		.amdhsa_exception_fp_denorm_src 0
		.amdhsa_exception_fp_ieee_div_zero 0
		.amdhsa_exception_fp_ieee_overflow 0
		.amdhsa_exception_fp_ieee_underflow 0
		.amdhsa_exception_fp_ieee_inexact 0
		.amdhsa_exception_int_div_zero 0
	.end_amdhsa_kernel
	.text
.Lfunc_end0:
	.size	fft_rtc_fwd_len1428_factors_17_2_7_6_wgs_119_tpt_119_halfLds_sp_op_CI_CI_unitstride_sbrr_dirReg, .Lfunc_end0-fft_rtc_fwd_len1428_factors_17_2_7_6_wgs_119_tpt_119_halfLds_sp_op_CI_CI_unitstride_sbrr_dirReg
                                        ; -- End function
	.section	.AMDGPU.csdata,"",@progbits
; Kernel info:
; codeLenInByte = 11024
; NumSgprs: 29
; NumVgprs: 96
; ScratchSize: 0
; MemoryBound: 0
; FloatMode: 240
; IeeeMode: 1
; LDSByteSize: 0 bytes/workgroup (compile time only)
; SGPRBlocks: 3
; VGPRBlocks: 11
; NumSGPRsForWavesPerEU: 29
; NumVGPRsForWavesPerEU: 96
; Occupancy: 10
; WaveLimiterHint : 1
; COMPUTE_PGM_RSRC2:SCRATCH_EN: 0
; COMPUTE_PGM_RSRC2:USER_SGPR: 6
; COMPUTE_PGM_RSRC2:TRAP_HANDLER: 0
; COMPUTE_PGM_RSRC2:TGID_X_EN: 1
; COMPUTE_PGM_RSRC2:TGID_Y_EN: 0
; COMPUTE_PGM_RSRC2:TGID_Z_EN: 0
; COMPUTE_PGM_RSRC2:TIDIG_COMP_CNT: 0
	.text
	.p2alignl 6, 3214868480
	.fill 48, 4, 3214868480
	.type	__hip_cuid_6ab01bb369e444,@object ; @__hip_cuid_6ab01bb369e444
	.section	.bss,"aw",@nobits
	.globl	__hip_cuid_6ab01bb369e444
__hip_cuid_6ab01bb369e444:
	.byte	0                               ; 0x0
	.size	__hip_cuid_6ab01bb369e444, 1

	.ident	"AMD clang version 19.0.0git (https://github.com/RadeonOpenCompute/llvm-project roc-6.4.0 25133 c7fe45cf4b819c5991fe208aaa96edf142730f1d)"
	.section	".note.GNU-stack","",@progbits
	.addrsig
	.addrsig_sym __hip_cuid_6ab01bb369e444
	.amdgpu_metadata
---
amdhsa.kernels:
  - .args:
      - .actual_access:  read_only
        .address_space:  global
        .offset:         0
        .size:           8
        .value_kind:     global_buffer
      - .offset:         8
        .size:           8
        .value_kind:     by_value
      - .actual_access:  read_only
        .address_space:  global
        .offset:         16
        .size:           8
        .value_kind:     global_buffer
      - .actual_access:  read_only
        .address_space:  global
        .offset:         24
        .size:           8
        .value_kind:     global_buffer
      - .actual_access:  read_only
        .address_space:  global
        .offset:         32
        .size:           8
        .value_kind:     global_buffer
      - .offset:         40
        .size:           8
        .value_kind:     by_value
      - .actual_access:  read_only
        .address_space:  global
        .offset:         48
        .size:           8
        .value_kind:     global_buffer
      - .actual_access:  read_only
        .address_space:  global
        .offset:         56
        .size:           8
        .value_kind:     global_buffer
      - .offset:         64
        .size:           4
        .value_kind:     by_value
      - .actual_access:  read_only
        .address_space:  global
        .offset:         72
        .size:           8
        .value_kind:     global_buffer
      - .actual_access:  read_only
        .address_space:  global
        .offset:         80
        .size:           8
        .value_kind:     global_buffer
      - .actual_access:  read_only
        .address_space:  global
        .offset:         88
        .size:           8
        .value_kind:     global_buffer
      - .actual_access:  write_only
        .address_space:  global
        .offset:         96
        .size:           8
        .value_kind:     global_buffer
    .group_segment_fixed_size: 0
    .kernarg_segment_align: 8
    .kernarg_segment_size: 104
    .language:       OpenCL C
    .language_version:
      - 2
      - 0
    .max_flat_workgroup_size: 119
    .name:           fft_rtc_fwd_len1428_factors_17_2_7_6_wgs_119_tpt_119_halfLds_sp_op_CI_CI_unitstride_sbrr_dirReg
    .private_segment_fixed_size: 0
    .sgpr_count:     29
    .sgpr_spill_count: 0
    .symbol:         fft_rtc_fwd_len1428_factors_17_2_7_6_wgs_119_tpt_119_halfLds_sp_op_CI_CI_unitstride_sbrr_dirReg.kd
    .uniform_work_group_size: 1
    .uses_dynamic_stack: false
    .vgpr_count:     96
    .vgpr_spill_count: 0
    .wavefront_size: 32
    .workgroup_processor_mode: 1
amdhsa.target:   amdgcn-amd-amdhsa--gfx1030
amdhsa.version:
  - 1
  - 2
...

	.end_amdgpu_metadata
